;; amdgpu-corpus repo=ROCm/rocFFT kind=compiled arch=gfx950 opt=O3
	.text
	.amdgcn_target "amdgcn-amd-amdhsa--gfx950"
	.amdhsa_code_object_version 6
	.protected	bluestein_single_fwd_len450_dim1_sp_op_CI_CI ; -- Begin function bluestein_single_fwd_len450_dim1_sp_op_CI_CI
	.globl	bluestein_single_fwd_len450_dim1_sp_op_CI_CI
	.p2align	8
	.type	bluestein_single_fwd_len450_dim1_sp_op_CI_CI,@function
bluestein_single_fwd_len450_dim1_sp_op_CI_CI: ; @bluestein_single_fwd_len450_dim1_sp_op_CI_CI
; %bb.0:
	s_load_dwordx4 s[12:15], s[0:1], 0x28
	v_mul_u32_u24_e32 v1, 0x889, v0
	v_lshrrev_b32_e32 v2, 16, v1
	v_mov_b32_e32 v113, 0
	v_lshl_add_u32 v120, s2, 2, v2
	v_mov_b32_e32 v121, v113
	s_waitcnt lgkmcnt(0)
	v_cmp_gt_u64_e32 vcc, s[12:13], v[120:121]
	s_and_saveexec_b64 s[2:3], vcc
	s_cbranch_execz .LBB0_15
; %bb.1:
	s_load_dwordx4 s[4:7], s[0:1], 0x18
	s_load_dwordx2 s[12:13], s[0:1], 0x0
	v_mul_lo_u16_e32 v1, 30, v2
	v_sub_u16_e32 v112, v0, v1
	v_mov_b32_e32 v4, s14
	s_waitcnt lgkmcnt(0)
	s_load_dwordx4 s[8:11], s[4:5], 0x0
	v_mov_b32_e32 v5, s15
	v_and_b32_e32 v2, 3, v2
	v_mul_u32_u24_e32 v2, 0x1c2, v2
	v_lshlrev_b32_e32 v174, 3, v2
	s_waitcnt lgkmcnt(0)
	v_mad_u64_u32 v[0:1], s[2:3], s10, v120, 0
	v_mov_b32_e32 v6, v1
	v_mad_u64_u32 v[6:7], s[2:3], s11, v120, v[6:7]
	v_mov_b32_e32 v1, v6
	;; [unrolled: 2-line block ×3, first 2 shown]
	v_mad_u64_u32 v[8:9], s[2:3], s9, v112, v[8:9]
	s_mul_i32 s2, s9, 45
	s_mul_hi_u32 s3, s8, 45
	v_mov_b32_e32 v7, v8
	v_lshl_add_u64 v[0:1], v[0:1], 3, v[4:5]
	s_add_i32 s3, s3, s2
	s_mul_i32 s2, s8, 45
	v_lshl_add_u64 v[0:1], v[6:7], 3, v[0:1]
	s_lshl_b64 s[10:11], s[2:3], 3
	v_lshlrev_b32_e32 v4, 3, v112
	global_load_dwordx2 v[6:7], v[0:1], off
	v_lshl_add_u64 v[0:1], v[0:1], 0, s[10:11]
	global_load_dwordx2 v[128:129], v4, s[12:13]
	global_load_dwordx2 v[10:11], v[0:1], off
	global_load_dwordx2 v[126:127], v4, s[12:13] offset:360
	v_lshl_add_u64 v[0:1], v[0:1], 0, s[10:11]
	global_load_dwordx2 v[124:125], v4, s[12:13] offset:720
	global_load_dwordx2 v[12:13], v[0:1], off
	v_lshl_add_u64 v[0:1], v[0:1], 0, s[10:11]
	global_load_dwordx2 v[14:15], v[0:1], off
	global_load_dwordx2 v[122:123], v4, s[12:13] offset:1080
	v_lshl_add_u64 v[0:1], v[0:1], 0, s[10:11]
	global_load_dwordx2 v[16:17], v[0:1], off
	global_load_dwordx2 v[118:119], v4, s[12:13] offset:1440
	;; [unrolled: 3-line block ×6, first 2 shown]
	global_load_dwordx2 v[106:107], v4, s[12:13] offset:3240
	v_lshl_add_u64 v[0:1], v[0:1], 0, s[10:11]
	global_load_dwordx2 v[26:27], v[0:1], off
	v_mov_b32_e32 v5, v113
	v_add_u32_e32 v121, v174, v4
	v_lshl_add_u64 v[104:105], s[12:13], 0, v[4:5]
	s_load_dwordx2 s[2:3], s[0:1], 0x38
	v_add_u32_e32 v8, 0x800, v121
	s_load_dwordx4 s[4:7], s[6:7], 0x0
	v_cmp_gt_u16_e32 vcc, 15, v112
	s_waitcnt vmcnt(18)
	v_mul_f32_e32 v2, v7, v129
	v_mul_f32_e32 v3, v6, v129
	s_waitcnt vmcnt(16)
	v_mul_f32_e32 v4, v11, v127
	v_mul_f32_e32 v5, v10, v127
	v_fmac_f32_e32 v2, v6, v128
	v_fma_f32 v3, v7, v128, -v3
	v_fmac_f32_e32 v4, v10, v126
	v_fma_f32 v5, v11, v126, -v5
	s_waitcnt vmcnt(14)
	v_mul_f32_e32 v6, v13, v125
	v_mul_f32_e32 v7, v12, v125
	ds_write2_b64 v121, v[2:3], v[4:5] offset1:45
	s_waitcnt vmcnt(12)
	v_mul_f32_e32 v2, v15, v123
	v_mul_f32_e32 v3, v14, v123
	v_fmac_f32_e32 v6, v12, v124
	v_fma_f32 v7, v13, v124, -v7
	v_fmac_f32_e32 v2, v14, v122
	v_fma_f32 v3, v15, v122, -v3
	s_waitcnt vmcnt(10)
	v_mul_f32_e32 v4, v17, v119
	v_mul_f32_e32 v5, v16, v119
	ds_write2_b64 v121, v[6:7], v[2:3] offset0:90 offset1:135
	s_waitcnt vmcnt(8)
	v_mul_f32_e32 v2, v19, v117
	v_mul_f32_e32 v3, v18, v117
	v_fmac_f32_e32 v4, v16, v118
	v_fma_f32 v5, v17, v118, -v5
	v_fmac_f32_e32 v2, v18, v116
	v_fma_f32 v3, v19, v116, -v3
	s_waitcnt vmcnt(6)
	v_mul_f32_e32 v6, v21, v115
	v_mul_f32_e32 v7, v20, v115
	ds_write2_b64 v121, v[4:5], v[2:3] offset0:180 offset1:225
	;; [unrolled: 11-line block ×3, first 2 shown]
	s_waitcnt vmcnt(0)
	v_mul_f32_e32 v2, v27, v107
	v_mul_f32_e32 v3, v26, v107
	v_fmac_f32_e32 v4, v24, v108
	v_fma_f32 v5, v25, v108, -v5
	v_fmac_f32_e32 v2, v26, v106
	v_fma_f32 v3, v27, v106, -v3
	ds_write2_b64 v8, v[4:5], v[2:3] offset0:104 offset1:149
	s_and_saveexec_b64 s[14:15], vcc
	s_cbranch_execz .LBB0_3
; %bb.2:
	v_mov_b32_e32 v2, 0xfffff448
	s_mulk_i32 s9, 0xf448
	v_mad_u64_u32 v[0:1], s[16:17], s8, v2, v[0:1]
	s_sub_i32 s8, s9, s8
	v_add_u32_e32 v1, s8, v1
	global_load_dwordx2 v[2:3], v[0:1], off
	global_load_dwordx2 v[4:5], v[104:105], off offset:240
	v_lshl_add_u64 v[0:1], v[0:1], 0, s[10:11]
	global_load_dwordx2 v[6:7], v[0:1], off
	global_load_dwordx2 v[10:11], v[104:105], off offset:600
	v_lshl_add_u64 v[0:1], v[0:1], 0, s[10:11]
	global_load_dwordx2 v[12:13], v[0:1], off
	global_load_dwordx2 v[14:15], v[104:105], off offset:960
	global_load_dwordx2 v[16:17], v[104:105], off offset:1320
	v_lshl_add_u64 v[0:1], v[0:1], 0, s[10:11]
	global_load_dwordx2 v[18:19], v[0:1], off
	v_lshl_add_u64 v[0:1], v[0:1], 0, s[10:11]
	global_load_dwordx2 v[20:21], v[0:1], off
	global_load_dwordx2 v[22:23], v[104:105], off offset:1680
	v_lshl_add_u64 v[0:1], v[0:1], 0, s[10:11]
	global_load_dwordx2 v[24:25], v[0:1], off
	global_load_dwordx2 v[26:27], v[104:105], off offset:2040
	;; [unrolled: 3-line block ×3, first 2 shown]
	global_load_dwordx2 v[32:33], v[104:105], off offset:2760
	v_lshl_add_u64 v[0:1], v[0:1], 0, s[10:11]
	global_load_dwordx2 v[34:35], v[0:1], off
	v_lshl_add_u64 v[0:1], v[0:1], 0, s[10:11]
	global_load_dwordx2 v[36:37], v[0:1], off
	global_load_dwordx2 v[38:39], v[104:105], off offset:3120
	global_load_dwordx2 v[40:41], v[104:105], off offset:3480
	v_lshl_add_u64 v[0:1], v[0:1], 0, s[10:11]
	global_load_dwordx2 v[0:1], v[0:1], off
	s_waitcnt vmcnt(18)
	v_mul_f32_e32 v42, v3, v5
	v_mul_f32_e32 v5, v2, v5
	v_fmac_f32_e32 v42, v2, v4
	v_fma_f32 v43, v3, v4, -v5
	s_waitcnt vmcnt(16)
	v_mul_f32_e32 v2, v7, v11
	v_mul_f32_e32 v3, v6, v11
	v_fmac_f32_e32 v2, v6, v10
	v_fma_f32 v3, v7, v10, -v3
	s_waitcnt vmcnt(14)
	v_mul_f32_e32 v4, v13, v15
	v_mul_f32_e32 v5, v12, v15
	ds_write2_b64 v121, v[42:43], v[2:3] offset0:30 offset1:75
	s_waitcnt vmcnt(12)
	v_mul_f32_e32 v2, v19, v17
	v_mul_f32_e32 v3, v18, v17
	v_fmac_f32_e32 v4, v12, v14
	v_fma_f32 v5, v13, v14, -v5
	v_fmac_f32_e32 v2, v18, v16
	v_fma_f32 v3, v19, v16, -v3
	s_waitcnt vmcnt(10)
	v_mul_f32_e32 v6, v21, v23
	v_mul_f32_e32 v7, v20, v23
	ds_write2_b64 v121, v[4:5], v[2:3] offset0:120 offset1:165
	s_waitcnt vmcnt(8)
	v_mul_f32_e32 v2, v25, v27
	v_mul_f32_e32 v3, v24, v27
	v_fmac_f32_e32 v6, v20, v22
	v_fma_f32 v7, v21, v22, -v7
	;; [unrolled: 11-line block ×4, first 2 shown]
	v_fmac_f32_e32 v2, v0, v40
	v_fma_f32 v3, v1, v40, -v3
	ds_write2_b64 v8, v[6:7], v[2:3] offset0:134 offset1:179
.LBB0_3:
	s_or_b64 exec, exec, s[14:15]
	s_waitcnt lgkmcnt(0)
	s_barrier
	ds_read2_b64 v[10:13], v121 offset1:45
	ds_read2_b64 v[0:3], v121 offset0:90 offset1:135
	ds_read2_b64 v[18:21], v121 offset0:180 offset1:225
	;; [unrolled: 1-line block ×4, first 2 shown]
	s_load_dwordx2 s[8:9], s[0:1], 0x8
                                        ; implicit-def: $vgpr38
                                        ; implicit-def: $vgpr26
                                        ; implicit-def: $vgpr30
                                        ; implicit-def: $vgpr34
                                        ; implicit-def: $vgpr22
                                        ; implicit-def: $vgpr8
                                        ; implicit-def: $vgpr44
                                        ; implicit-def: $vgpr40
                                        ; implicit-def: $vgpr42
                                        ; implicit-def: $vgpr36
	s_and_saveexec_b64 s[0:1], vcc
	s_cbranch_execz .LBB0_5
; %bb.4:
	v_add_u32_e32 v8, 0x800, v121
	ds_read2_b64 v[22:25], v121 offset0:30 offset1:75
	ds_read2_b64 v[26:29], v121 offset0:210 offset1:255
	;; [unrolled: 1-line block ×5, first 2 shown]
	s_waitcnt lgkmcnt(0)
	v_mov_b32_e32 v8, v29
	v_mov_b32_e32 v9, v28
	;; [unrolled: 1-line block ×10, first 2 shown]
.LBB0_5:
	s_or_b64 exec, exec, s[0:1]
	v_pk_add_f32 v[24:25], v[22:23], v[38:39]
	v_pk_add_f32 v[28:29], v[26:27], v[34:35]
	s_mov_b32 s0, 0x3f737871
	v_pk_add_f32 v[32:33], v[38:39], v[30:31] neg_lo:[0,1] neg_hi:[0,1]
	v_pk_add_f32 v[50:51], v[26:27], v[34:35] neg_lo:[0,1] neg_hi:[0,1]
	;; [unrolled: 1-line block ×3, first 2 shown]
	v_pk_add_f32 v[56:57], v[38:39], v[30:31]
	v_pk_add_f32 v[38:39], v[26:27], v[38:39] neg_lo:[0,1] neg_hi:[0,1]
	v_pk_add_f32 v[24:25], v[24:25], v[26:27]
	v_pk_fma_f32 v[26:27], v[28:29], 0.5, v[22:23] op_sel_hi:[1,0,1] neg_lo:[1,0,0] neg_hi:[1,0,0]
	s_mov_b32 s1, 0xbf737871
	v_pk_fma_f32 v[28:29], v[32:33], s[0:1], v[26:27] op_sel:[1,0,0] op_sel_hi:[0,0,1]
	v_pk_fma_f32 v[26:27], v[32:33], s[0:1], v[26:27] op_sel:[1,0,0] op_sel_hi:[0,0,1] neg_lo:[1,0,0] neg_hi:[1,0,0]
	s_mov_b32 s10, 0x3f167918
	v_pk_add_f32 v[54:55], v[30:31], v[34:35] neg_lo:[0,1] neg_hi:[0,1]
	v_pk_add_f32 v[24:25], v[24:25], v[34:35]
	v_pk_fma_f32 v[26:27], v[50:51], s[10:11], v[26:27] op_sel:[1,0,0] op_sel_hi:[0,0,1] neg_lo:[1,0,0] neg_hi:[1,0,0]
	v_pk_fma_f32 v[28:29], v[50:51], s[10:11], v[28:29] op_sel:[1,0,0] op_sel_hi:[0,0,1]
	v_pk_add_f32 v[58:59], v[34:35], v[30:31] neg_lo:[0,1] neg_hi:[0,1]
	v_pk_add_f32 v[24:25], v[24:25], v[30:31]
	v_pk_add_f32 v[30:31], v[52:53], v[54:55]
	v_mov_b32_e32 v52, v28
	v_mov_b32_e32 v53, v27
	v_mov_b32_e32 v27, v29
	s_mov_b32 s14, 0x3e9e377a
	v_pk_fma_f32 v[22:23], v[56:57], 0.5, v[22:23] op_sel_hi:[1,0,1] neg_lo:[1,0,0] neg_hi:[1,0,0]
	v_pk_fma_f32 v[28:29], v[30:31], s[14:15], v[52:53] op_sel_hi:[1,0,1]
	v_pk_fma_f32 v[26:27], v[30:31], s[14:15], v[26:27] op_sel_hi:[1,0,1]
	v_pk_fma_f32 v[30:31], v[50:51], s[0:1], v[22:23] op_sel:[1,0,0] op_sel_hi:[0,0,1] neg_lo:[1,0,0] neg_hi:[1,0,0]
	v_pk_fma_f32 v[22:23], v[50:51], s[0:1], v[22:23] op_sel:[1,0,0] op_sel_hi:[0,0,1]
	v_pk_add_f32 v[60:61], v[36:37], v[44:45]
	v_pk_add_f32 v[52:53], v[8:9], v[40:41]
	v_pk_fma_f32 v[50:51], v[32:33], s[10:11], v[22:23] op_sel:[1,0,0] op_sel_hi:[0,0,1] neg_lo:[1,0,0] neg_hi:[1,0,0]
	v_pk_fma_f32 v[30:31], v[32:33], s[10:11], v[30:31] op_sel:[1,0,0] op_sel_hi:[0,0,1]
	v_pk_add_f32 v[62:63], v[44:45], v[42:43] neg_lo:[0,1] neg_hi:[0,1]
	v_pk_add_f32 v[66:67], v[8:9], v[40:41] neg_lo:[0,1] neg_hi:[0,1]
	;; [unrolled: 1-line block ×4, first 2 shown]
	v_mov_b32_e32 v22, v30
	v_mov_b32_e32 v23, v51
	v_pk_add_f32 v[32:33], v[38:39], v[58:59]
	v_mov_b32_e32 v51, v31
	v_pk_fma_f32 v[38:39], v[52:53], 0.5, v[36:37] op_sel_hi:[1,0,1] neg_lo:[1,0,0] neg_hi:[1,0,0]
	v_pk_add_f32 v[8:9], v[60:61], v[8:9]
	v_pk_fma_f32 v[22:23], v[32:33], s[14:15], v[22:23] op_sel_hi:[1,0,1]
	v_pk_fma_f32 v[30:31], v[32:33], s[14:15], v[50:51] op_sel_hi:[1,0,1]
	v_pk_fma_f32 v[32:33], v[62:63], s[0:1], v[38:39] op_sel:[1,0,0] op_sel_hi:[0,0,1]
	v_pk_add_f32 v[8:9], v[8:9], v[40:41]
	v_pk_add_f32 v[68:69], v[42:43], v[40:41] neg_lo:[0,1] neg_hi:[0,1]
	v_pk_fma_f32 v[50:51], v[66:67], s[10:11], v[32:33] op_sel:[1,0,0] op_sel_hi:[0,0,1]
	v_pk_add_f32 v[32:33], v[8:9], v[42:43]
	v_pk_fma_f32 v[8:9], v[62:63], s[0:1], v[38:39] op_sel:[1,0,0] op_sel_hi:[0,0,1] neg_lo:[1,0,0] neg_hi:[1,0,0]
	v_pk_add_f32 v[34:35], v[34:35], v[68:69]
	v_pk_fma_f32 v[8:9], v[66:67], s[10:11], v[8:9] op_sel:[1,0,0] op_sel_hi:[0,0,1] neg_lo:[1,0,0] neg_hi:[1,0,0]
	v_pk_add_f32 v[44:45], v[44:45], v[42:43]
	v_pk_fma_f32 v[52:53], v[34:35], s[14:15], v[50:51] op_sel_hi:[1,0,1]
	v_mov_b32_e32 v51, v9
	v_pk_add_f32 v[54:55], v[40:41], v[42:43] neg_lo:[0,1] neg_hi:[0,1]
	v_pk_fma_f32 v[40:41], v[34:35], s[14:15], v[8:9] op_sel_hi:[1,0,1]
	v_pk_fma_f32 v[8:9], v[34:35], s[14:15], v[50:51] op_sel_hi:[1,0,1]
	v_pk_fma_f32 v[34:35], v[44:45], 0.5, v[36:37] op_sel_hi:[1,0,1] neg_lo:[1,0,0] neg_hi:[1,0,0]
	s_mov_b32 s16, 0x3f4f1bbd
	v_pk_fma_f32 v[36:37], v[66:67], s[0:1], v[34:35] op_sel:[1,0,0] op_sel_hi:[0,0,1] neg_lo:[1,0,0] neg_hi:[1,0,0]
	v_pk_fma_f32 v[34:35], v[66:67], s[0:1], v[34:35] op_sel:[1,0,0] op_sel_hi:[0,0,1]
	v_pk_fma_f32 v[36:37], v[62:63], s[10:11], v[36:37] op_sel:[1,0,0] op_sel_hi:[0,0,1]
	v_pk_fma_f32 v[34:35], v[62:63], s[10:11], v[34:35] op_sel:[1,0,0] op_sel_hi:[0,0,1] neg_lo:[1,0,0] neg_hi:[1,0,0]
	s_mov_b32 s17, s10
	v_mov_b32_e32 v38, v34
	v_mov_b32_e32 v39, v37
	v_pk_add_f32 v[42:43], v[70:71], v[54:55]
	v_mov_b32_e32 v37, v35
	v_pk_mul_f32 v[34:35], v[52:53], s[16:17] op_sel:[1,0]
	s_mov_b32 s11, s16
	v_pk_fma_f32 v[44:45], v[42:43], s[14:15], v[38:39] op_sel_hi:[1,0,1]
	v_pk_fma_f32 v[38:39], v[40:41], s[10:11], v[34:35]
	v_pk_fma_f32 v[34:35], v[40:41], s[10:11], v[34:35] op_sel_hi:[0,1,1] neg_lo:[0,0,1] neg_hi:[0,0,1]
	v_mov_b32_e32 v39, v35
	v_pk_mul_f32 v[34:35], v[44:45], s[0:1] op_sel_hi:[1,0]
	v_pk_fma_f32 v[36:37], v[42:43], s[14:15], v[36:37] op_sel_hi:[1,0,1]
	v_pk_fma_f32 v[40:41], v[44:45], s[14:15], v[34:35] op_sel:[0,0,1] op_sel_hi:[1,0,0]
	v_pk_fma_f32 v[42:43], v[44:45], s[14:15], v[34:35] op_sel:[0,0,1] op_sel_hi:[1,0,0] neg_lo:[0,0,1] neg_hi:[0,0,1]
	v_mov_b32_e32 v34, v41
	v_pk_mul_f32 v[40:41], v[36:37], s[14:15] op_sel_hi:[1,0]
	s_mov_b32 s19, 0xbf167918
	v_pk_fma_f32 v[40:41], v[36:37], s[0:1], v[40:41] op_sel:[0,0,1] op_sel_hi:[1,1,0] neg_lo:[0,0,1] neg_hi:[0,0,1]
	s_mov_b32 s18, s10
	v_pk_mul_f32 v[36:37], v[8:9], s[16:17] op_sel_hi:[1,0]
	v_mov_b32_e32 v35, v42
	v_pk_fma_f32 v[36:37], v[8:9], s[18:19], v[36:37] op_sel:[0,0,1] op_sel_hi:[1,1,0] neg_lo:[0,0,1] neg_hi:[0,0,1]
	s_waitcnt lgkmcnt(0)
	v_pk_add_f32 v[8:9], v[18:19], v[4:5]
	v_pk_add_f32 v[42:43], v[0:1], v[14:15] neg_lo:[0,1] neg_hi:[0,1]
	v_pk_fma_f32 v[8:9], v[8:9], 0.5, v[10:11] op_sel_hi:[1,0,1] neg_lo:[1,0,0] neg_hi:[1,0,0]
	v_pk_mul_f32 v[44:45], v[42:43], s[0:1] op_sel_hi:[1,0]
	v_pk_add_f32 v[50:51], v[18:19], v[4:5] neg_lo:[0,1] neg_hi:[0,1]
	v_pk_add_f32 v[54:55], v[0:1], v[18:19] neg_lo:[0,1] neg_hi:[0,1]
	;; [unrolled: 1-line block ×3, first 2 shown]
	v_pk_add_f32 v[46:47], v[10:11], v[0:1]
	v_pk_mul_f32 v[52:53], v[50:51], s[10:11] op_sel_hi:[1,0]
	v_pk_add_f32 v[54:55], v[54:55], v[56:57]
	v_pk_add_f32 v[56:57], v[8:9], v[44:45] op_sel:[0,1] op_sel_hi:[1,0]
	v_pk_add_f32 v[8:9], v[8:9], v[44:45] op_sel:[0,1] op_sel_hi:[1,0] neg_lo:[0,1] neg_hi:[0,1]
	v_pk_add_f32 v[58:59], v[20:21], v[6:7] neg_lo:[0,1] neg_hi:[0,1]
	v_pk_add_f32 v[44:45], v[8:9], v[52:53] op_sel:[0,1] op_sel_hi:[1,0] neg_lo:[0,1] neg_hi:[0,1]
	v_pk_add_f32 v[52:53], v[56:57], v[52:53] op_sel:[0,1] op_sel_hi:[1,0]
	v_pk_add_f32 v[8:9], v[0:1], v[14:15]
	v_pk_add_f32 v[0:1], v[18:19], v[0:1] neg_lo:[0,1] neg_hi:[0,1]
	v_pk_add_f32 v[56:57], v[4:5], v[14:15] neg_lo:[0,1] neg_hi:[0,1]
	v_pk_add_f32 v[60:61], v[2:3], v[16:17]
	v_pk_add_f32 v[18:19], v[46:47], v[18:19]
	;; [unrolled: 1-line block ×4, first 2 shown]
	v_pk_add_f32 v[56:57], v[2:3], v[16:17] neg_lo:[0,1] neg_hi:[0,1]
	v_pk_fma_f32 v[60:61], v[60:61], 0.5, v[12:13] op_sel_hi:[1,0,1] neg_lo:[1,0,0] neg_hi:[1,0,0]
	v_pk_mul_f32 v[62:63], v[58:59], s[0:1] op_sel_hi:[1,0]
	v_pk_add_f32 v[66:67], v[20:21], v[2:3] neg_lo:[0,1] neg_hi:[0,1]
	v_pk_add_f32 v[68:69], v[6:7], v[16:17] neg_lo:[0,1] neg_hi:[0,1]
	v_pk_add_f32 v[4:5], v[18:19], v[4:5]
	v_pk_add_f32 v[66:67], v[66:67], v[68:69]
	v_pk_add_f32 v[68:69], v[60:61], v[62:63] op_sel:[0,1] op_sel_hi:[1,0] neg_lo:[0,1] neg_hi:[0,1]
	v_pk_add_f32 v[60:61], v[60:61], v[62:63] op_sel:[0,1] op_sel_hi:[1,0]
	v_pk_mul_f32 v[62:63], v[56:57], s[10:11] op_sel_hi:[1,0]
	v_pk_add_f32 v[46:47], v[4:5], v[14:15]
	v_pk_add_f32 v[4:5], v[48:49], v[20:21]
	v_pk_add_f32 v[60:61], v[60:61], v[62:63] op_sel:[0,1] op_sel_hi:[1,0] neg_lo:[0,1] neg_hi:[0,1]
	v_pk_add_f32 v[62:63], v[68:69], v[62:63] op_sel:[0,1] op_sel_hi:[1,0]
	v_pk_add_f32 v[4:5], v[4:5], v[6:7]
	v_pk_add_f32 v[18:19], v[20:21], v[6:7]
	;; [unrolled: 1-line block ×3, first 2 shown]
	v_mov_b32_e32 v4, v62
	v_mov_b32_e32 v5, v61
	v_pk_fma_f32 v[4:5], v[66:67], s[14:15], v[4:5] op_sel_hi:[1,0,1]
	v_pk_add_f32 v[16:17], v[16:17], v[6:7] neg_lo:[0,1] neg_hi:[0,1]
	v_pk_mul_f32 v[6:7], v[4:5], s[0:1] op_sel_hi:[1,0]
	v_pk_fma_f32 v[8:9], v[8:9], 0.5, v[10:11] op_sel_hi:[1,0,1] neg_lo:[1,0,0] neg_hi:[1,0,0]
	v_pk_fma_f32 v[70:71], v[4:5], s[14:15], v[6:7] op_sel:[0,0,1] op_sel_hi:[1,0,0]
	v_pk_fma_f32 v[14:15], v[4:5], s[14:15], v[6:7] op_sel:[0,0,1] op_sel_hi:[1,0,0] neg_lo:[0,0,1] neg_hi:[0,0,1]
	v_pk_mul_f32 v[10:11], v[50:51], s[0:1] op_sel_hi:[1,0]
	v_pk_add_f32 v[68:69], v[2:3], v[20:21] neg_lo:[0,1] neg_hi:[0,1]
	v_mov_b32_e32 v71, v15
	v_pk_mul_f32 v[14:15], v[42:43], s[10:11] op_sel_hi:[1,0]
	v_pk_add_f32 v[20:21], v[8:9], v[10:11] op_sel:[0,1] op_sel_hi:[1,0] neg_lo:[0,1] neg_hi:[0,1]
	v_pk_add_f32 v[8:9], v[8:9], v[10:11] op_sel:[0,1] op_sel_hi:[1,0]
	v_mov_b32_e32 v61, v63
	v_pk_add_f32 v[42:43], v[8:9], v[14:15] op_sel:[0,1] op_sel_hi:[1,0] neg_lo:[0,1] neg_hi:[0,1]
	v_pk_add_f32 v[14:15], v[20:21], v[14:15] op_sel:[0,1] op_sel_hi:[1,0]
	v_mul_lo_u16_e32 v20, 10, v112
	v_pk_fma_f32 v[50:51], v[66:67], s[14:15], v[60:61] op_sel_hi:[1,0,1]
	v_lshl_add_u32 v178, v20, 3, v174
	v_mov_b32_e32 v20, v14
	v_mov_b32_e32 v21, v43
	s_mov_b32 s20, s1
	s_mov_b32 s21, s0
	v_pk_mul_f32 v[60:61], v[50:51], s[14:15] op_sel_hi:[1,0]
	v_mov_b32_e32 v43, v15
	v_pk_fma_f32 v[50:51], v[50:51], s[20:21], v[60:61] op_sel:[0,0,1] op_sel_hi:[1,1,0] neg_lo:[0,0,1] neg_hi:[0,0,1]
	v_pk_fma_f32 v[60:61], v[0:1], s[14:15], v[20:21] op_sel_hi:[1,0,1]
	v_mov_b32_e32 v20, v52
	v_mov_b32_e32 v21, v45
	v_pk_fma_f32 v[12:13], v[18:19], 0.5, v[12:13] op_sel_hi:[1,0,1] neg_lo:[1,0,0] neg_hi:[1,0,0]
	v_mov_b32_e32 v45, v53
	v_pk_mul_f32 v[52:53], v[56:57], s[0:1] op_sel_hi:[1,0]
	v_pk_fma_f32 v[0:1], v[0:1], s[14:15], v[42:43] op_sel_hi:[1,0,1]
	v_pk_fma_f32 v[42:43], v[54:55], s[14:15], v[20:21] op_sel_hi:[1,0,1]
	;; [unrolled: 1-line block ×3, first 2 shown]
	v_pk_add_f32 v[54:55], v[12:13], v[52:53] op_sel:[0,1] op_sel_hi:[1,0]
	v_pk_mul_f32 v[56:57], v[58:59], s[10:11] op_sel_hi:[1,0]
	v_pk_add_f32 v[12:13], v[12:13], v[52:53] op_sel:[0,1] op_sel_hi:[1,0] neg_lo:[0,1] neg_hi:[0,1]
	v_pk_add_f32 v[16:17], v[68:69], v[16:17]
	v_pk_add_f32 v[54:55], v[56:57], v[54:55] op_sel:[1,0] op_sel_hi:[0,1]
	v_pk_add_f32 v[12:13], v[12:13], v[56:57] op_sel:[0,1] op_sel_hi:[1,0] neg_lo:[0,1] neg_hi:[0,1]
	v_pk_fma_f32 v[58:59], v[16:17], s[14:15], v[54:55] op_sel_hi:[1,0,1]
	v_pk_fma_f32 v[52:53], v[16:17], s[14:15], v[12:13] op_sel_hi:[1,0,1]
	v_mov_b32_e32 v13, v55
	v_pk_fma_f32 v[12:13], v[16:17], s[14:15], v[12:13] op_sel_hi:[1,0,1]
	s_mov_b32 s18, s19
	s_mov_b32 s19, s10
	v_pk_mul_f32 v[16:17], v[12:13], s[16:17] op_sel_hi:[1,0]
	v_pk_add_f32 v[14:15], v[46:47], v[48:49]
	v_pk_fma_f32 v[54:55], v[12:13], s[18:19], v[16:17] op_sel:[0,0,1] op_sel_hi:[1,1,0] neg_lo:[0,0,1] neg_hi:[0,0,1]
	v_pk_mul_f32 v[12:13], v[58:59], s[16:17] op_sel_hi:[0,1]
	v_pk_fma_f32 v[56:57], v[52:53], s[10:11], v[12:13] op_sel:[1,0,0]
	v_pk_fma_f32 v[12:13], v[52:53], s[10:11], v[12:13] op_sel:[1,0,0] neg_lo:[0,0,1] neg_hi:[0,0,1]
	v_pk_add_f32 v[52:53], v[44:45], v[54:55] op_sel:[1,0] op_sel_hi:[0,1]
	v_mov_b32_e32 v57, v13
	v_pk_add_f32 v[16:17], v[42:43], v[56:57]
	s_barrier
	v_pk_add_f32 v[18:19], v[60:61], v[70:71]
	v_pk_add_f32 v[20:21], v[0:1], v[50:51] op_sel:[0,1] op_sel_hi:[1,0]
	ds_write_b128 v178, v[14:17]
	ds_write_b128 v178, v[18:21] offset:16
	v_pk_add_f32 v[14:15], v[46:47], v[48:49] neg_lo:[0,1] neg_hi:[0,1]
	v_mov_b32_e32 v12, v53
	v_mov_b32_e32 v13, v52
	ds_write_b128 v178, v[12:15] offset:32
	v_pk_add_f32 v[12:13], v[42:43], v[56:57] neg_lo:[0,1] neg_hi:[0,1]
	v_pk_add_f32 v[14:15], v[60:61], v[70:71] neg_lo:[0,1] neg_hi:[0,1]
	v_lshl_add_u64 v[64:65], v[112:113], 0, 30
	ds_write_b128 v178, v[12:15] offset:48
	v_pk_add_f32 v[12:13], v[0:1], v[50:51] op_sel:[0,1] op_sel_hi:[1,0] neg_lo:[0,1] neg_hi:[0,1]
	v_pk_add_f32 v[0:1], v[44:45], v[54:55] op_sel:[1,0] op_sel_hi:[0,1] neg_lo:[0,1] neg_hi:[0,1]
	;; [unrolled: 1-line block ×3, first 2 shown]
	v_pk_add_f32 v[4:5], v[28:29], v[38:39] neg_lo:[0,1] neg_hi:[0,1]
	v_pk_add_f32 v[6:7], v[22:23], v[34:35] neg_lo:[0,1] neg_hi:[0,1]
	;; [unrolled: 1-line block ×4, first 2 shown]
	v_mov_b32_e32 v14, v1
	v_mov_b32_e32 v15, v0
	v_mul_u32_u24_e32 v180, 10, v64
	ds_write_b128 v178, v[12:15] offset:64
	s_and_saveexec_b64 s[16:17], vcc
	s_cbranch_execz .LBB0_7
; %bb.6:
	v_mov_b32_e32 v0, v33
	v_mov_b32_e32 v1, v32
	v_lshl_add_u32 v16, v180, 3, v174
	v_pk_add_f32 v[12:13], v[24:25], v[0:1]
	v_pk_add_f32 v[14:15], v[28:29], v[38:39]
	ds_write_b128 v16, v[12:15]
	v_pk_add_f32 v[12:13], v[22:23], v[34:35]
	v_pk_add_f32 v[14:15], v[30:31], v[40:41]
	;; [unrolled: 1-line block ×3, first 2 shown]
	ds_write_b128 v16, v[12:15] offset:16
	ds_write_b128 v16, v[0:3] offset:32
	;; [unrolled: 1-line block ×4, first 2 shown]
.LBB0_7:
	s_or_b64 exec, exec, s[16:17]
	v_lshl_add_u64 v[0:1], v[112:113], 0, 60
	s_movk_i32 s11, 0xcd
	v_mul_lo_u16_sdwa v12, v0, s11 dst_sel:DWORD dst_unused:UNUSED_PAD src0_sel:BYTE_0 src1_sel:DWORD
	v_lshrrev_b16_e32 v69, 11, v12
	v_mul_lo_u16_sdwa v1, v64, s11 dst_sel:DWORD dst_unused:UNUSED_PAD src0_sel:BYTE_0 src1_sel:DWORD
	v_mul_lo_u16_e32 v12, 10, v69
	v_lshrrev_b16_e32 v68, 11, v1
	v_mov_b32_e32 v1, 5
	v_sub_u16_e32 v70, v0, v12
	v_lshlrev_b32_sdwa v12, v1, v70 dst_sel:DWORD dst_unused:UNUSED_PAD src0_sel:DWORD src1_sel:BYTE_0
	s_waitcnt lgkmcnt(0)
	s_barrier
	global_load_dwordx4 v[28:31], v12, s[8:9] offset:16
	global_load_dwordx4 v[32:35], v12, s[8:9]
	v_mul_lo_u16_e32 v12, 10, v68
	v_sub_u16_e32 v71, v64, v12
	v_lshlrev_b32_sdwa v1, v1, v71 dst_sel:DWORD dst_unused:UNUSED_PAD src0_sel:DWORD src1_sel:BYTE_0
	global_load_dwordx4 v[24:27], v1, s[8:9]
	global_load_dwordx4 v[20:23], v1, s[8:9] offset:16
	v_mul_lo_u16_sdwa v1, v112, s11 dst_sel:DWORD dst_unused:UNUSED_PAD src0_sel:BYTE_0 src1_sel:DWORD
	v_lshrrev_b16_e32 v72, 11, v1
	v_mul_lo_u16_e32 v1, 10, v72
	v_sub_u16_e32 v73, v112, v1
	v_lshlrev_b16_e32 v1, 2, v73
	v_and_b32_e32 v1, 0xfc, v1
	v_lshlrev_b32_e32 v1, 3, v1
	global_load_dwordx4 v[16:19], v1, s[8:9]
	global_load_dwordx4 v[12:15], v1, s[8:9] offset:16
	ds_read2_b64 v[36:39], v121 offset0:60 offset1:90
	ds_read2_b64 v[40:43], v121 offset0:120 offset1:150
	v_add_u32_e32 v1, 0x400, v121
	v_add_u32_e32 v96, 0x800, v121
	ds_read_b64 v[66:67], v121 offset:3360
	ds_read2_b64 v[44:47], v121 offset1:30
	ds_read2_b64 v[48:51], v121 offset0:180 offset1:210
	ds_read2_b64 v[52:55], v1 offset0:112 offset1:142
	;; [unrolled: 1-line block ×4, first 2 shown]
	v_mul_u32_u24_e32 v68, 50, v68
	v_mul_u32_u24_e32 v69, 50, v69
	v_mad_legacy_u16 v72, v72, 50, v73
	v_add_u32_sdwa v68, v68, v71 dst_sel:DWORD dst_unused:UNUSED_PAD src0_sel:DWORD src1_sel:BYTE_0
	v_add_u32_sdwa v69, v69, v70 dst_sel:DWORD dst_unused:UNUSED_PAD src0_sel:DWORD src1_sel:BYTE_0
	v_and_b32_e32 v70, 0xff, v72
	v_lshl_add_u32 v176, v68, 3, v174
	v_lshl_add_u32 v175, v69, 3, v174
	v_lshl_add_u32 v177, v70, 3, v174
	s_waitcnt lgkmcnt(0)
	s_barrier
	v_lshlrev_b32_e32 v97, 4, v112
	v_lshlrev_b32_e32 v0, 4, v0
	s_waitcnt vmcnt(5)
	v_pk_mul_f32 v[72:73], v[58:59], v[28:29] op_sel:[0,1]
	s_waitcnt vmcnt(4)
	v_pk_mul_f32 v[68:69], v[42:43], v[32:33] op_sel:[0,1]
	v_mov_b32_e32 v70, v35
	v_mov_b32_e32 v74, v31
	s_waitcnt vmcnt(3)
	v_pk_mul_f32 v[76:77], v[40:41], v[24:25] op_sel:[0,1]
	v_mov_b32_e32 v78, v27
	s_waitcnt vmcnt(2)
	v_pk_mul_f32 v[80:81], v[56:57], v[20:21] op_sel:[0,1]
	v_mov_b32_e32 v82, v23
	v_pk_fma_f32 v[84:85], v[42:43], v[32:33], v[68:69] op_sel:[0,0,1] op_sel_hi:[1,1,0] neg_lo:[0,0,1] neg_hi:[0,0,1]
	v_pk_fma_f32 v[42:43], v[42:43], v[32:33], v[68:69] op_sel:[0,0,1] op_sel_hi:[1,0,0]
	v_pk_mul_f32 v[68:69], v[52:53], v[70:71] op_sel_hi:[1,0]
	v_pk_fma_f32 v[70:71], v[58:59], v[28:29], v[72:73] op_sel:[0,0,1] op_sel_hi:[1,1,0] neg_lo:[0,0,1] neg_hi:[0,0,1]
	v_pk_fma_f32 v[58:59], v[58:59], v[28:29], v[72:73] op_sel:[0,0,1] op_sel_hi:[1,0,0]
	v_pk_mul_f32 v[72:73], v[66:67], v[74:75] op_sel_hi:[1,0]
	;; [unrolled: 3-line block ×4, first 2 shown]
	v_mov_b32_e32 v85, v43
	v_pk_fma_f32 v[42:43], v[52:53], v[34:35], v[68:69] op_sel:[0,0,1] op_sel_hi:[1,1,0] neg_lo:[0,0,1] neg_hi:[0,0,1]
	v_pk_fma_f32 v[52:53], v[52:53], v[34:35], v[68:69] op_sel:[0,0,1] op_sel_hi:[1,0,0]
	v_mov_b32_e32 v79, v57
	v_pk_fma_f32 v[56:57], v[62:63], v[22:23], v[80:81] op_sel:[0,0,1] op_sel_hi:[1,1,0] neg_lo:[0,0,1] neg_hi:[0,0,1]
	v_pk_fma_f32 v[62:63], v[62:63], v[22:23], v[80:81] op_sel:[0,0,1] op_sel_hi:[1,0,0]
	s_waitcnt vmcnt(1)
	v_pk_mul_f32 v[68:69], v[38:39], v[16:17] op_sel:[0,1]
	v_mov_b32_e32 v57, v63
	v_pk_fma_f32 v[62:63], v[38:39], v[16:17], v[68:69] op_sel:[0,0,1] op_sel_hi:[1,1,0] neg_lo:[0,0,1] neg_hi:[0,0,1]
	v_pk_fma_f32 v[38:39], v[38:39], v[16:17], v[68:69] op_sel:[0,0,1] op_sel_hi:[1,0,0]
	v_mov_b32_e32 v71, v59
	v_mov_b32_e32 v38, v19
	v_pk_fma_f32 v[58:59], v[66:67], v[30:31], v[72:73] op_sel:[0,0,1] op_sel_hi:[1,1,0] neg_lo:[0,0,1] neg_hi:[0,0,1]
	v_pk_fma_f32 v[66:67], v[66:67], v[30:31], v[72:73] op_sel:[0,0,1] op_sel_hi:[1,0,0]
	v_mov_b32_e32 v63, v39
	v_pk_mul_f32 v[38:39], v[48:49], v[38:39] op_sel_hi:[1,0]
	v_mov_b32_e32 v59, v67
	v_pk_fma_f32 v[66:67], v[48:49], v[18:19], v[38:39] op_sel:[0,0,1] op_sel_hi:[1,1,0] neg_lo:[0,0,1] neg_hi:[0,0,1]
	v_pk_fma_f32 v[38:39], v[48:49], v[18:19], v[38:39] op_sel:[0,0,1] op_sel_hi:[1,0,0]
	v_mov_b32_e32 v75, v41
	v_mov_b32_e32 v67, v39
	s_waitcnt vmcnt(0)
	v_pk_mul_f32 v[38:39], v[54:55], v[12:13] op_sel:[0,1]
	v_pk_fma_f32 v[40:41], v[50:51], v[26:27], v[76:77] op_sel:[0,0,1] op_sel_hi:[1,1,0] neg_lo:[0,0,1] neg_hi:[0,0,1]
	v_pk_fma_f32 v[48:49], v[54:55], v[12:13], v[38:39] op_sel:[0,0,1] op_sel_hi:[1,1,0] neg_lo:[0,0,1] neg_hi:[0,0,1]
	v_pk_fma_f32 v[38:39], v[54:55], v[12:13], v[38:39] op_sel:[0,0,1] op_sel_hi:[1,0,0]
	v_pk_fma_f32 v[50:51], v[50:51], v[26:27], v[76:77] op_sel:[0,0,1] op_sel_hi:[1,0,0]
	v_mov_b32_e32 v38, v15
	v_mov_b32_e32 v49, v39
	v_pk_mul_f32 v[38:39], v[60:61], v[38:39] op_sel_hi:[1,0]
	v_pk_add_f32 v[76:77], v[66:67], v[48:49] neg_lo:[0,1] neg_hi:[0,1]
	v_pk_fma_f32 v[54:55], v[60:61], v[14:15], v[38:39] op_sel:[0,0,1] op_sel_hi:[1,1,0] neg_lo:[0,0,1] neg_hi:[0,0,1]
	v_pk_fma_f32 v[38:39], v[60:61], v[14:15], v[38:39] op_sel:[0,0,1] op_sel_hi:[1,0,0]
	v_pk_add_f32 v[60:61], v[66:67], v[48:49]
	v_mov_b32_e32 v55, v39
	v_pk_add_f32 v[68:69], v[62:63], v[54:55] neg_lo:[0,1] neg_hi:[0,1]
	v_pk_fma_f32 v[60:61], v[60:61], 0.5, v[44:45] op_sel_hi:[1,0,1] neg_lo:[1,0,0] neg_hi:[1,0,0]
	v_pk_mul_f32 v[72:73], v[68:69], s[0:1] op_sel_hi:[1,0]
	v_pk_add_f32 v[82:83], v[62:63], v[66:67] neg_lo:[0,1] neg_hi:[0,1]
	v_pk_add_f32 v[86:87], v[54:55], v[48:49] neg_lo:[0,1] neg_hi:[0,1]
	v_pk_add_f32 v[38:39], v[44:45], v[62:63]
	v_pk_mul_f32 v[80:81], v[76:77], s[10:11] op_sel_hi:[1,0]
	v_pk_add_f32 v[82:83], v[82:83], v[86:87]
	v_pk_add_f32 v[86:87], v[60:61], v[72:73] op_sel:[0,1] op_sel_hi:[1,0]
	v_pk_add_f32 v[60:61], v[60:61], v[72:73] op_sel:[0,1] op_sel_hi:[1,0] neg_lo:[0,1] neg_hi:[0,1]
	v_pk_add_f32 v[38:39], v[38:39], v[66:67]
	v_pk_add_f32 v[60:61], v[60:61], v[80:81] op_sel:[0,1] op_sel_hi:[1,0] neg_lo:[0,1] neg_hi:[0,1]
	v_pk_add_f32 v[72:73], v[86:87], v[80:81] op_sel:[0,1] op_sel_hi:[1,0]
	v_pk_add_f32 v[38:39], v[38:39], v[48:49]
	v_mov_b32_e32 v80, v72
	v_mov_b32_e32 v81, v61
	v_pk_add_f32 v[38:39], v[38:39], v[54:55]
	v_pk_fma_f32 v[80:81], v[82:83], s[14:15], v[80:81] op_sel_hi:[1,0,1]
	ds_write2_b64 v177, v[38:39], v[80:81] offset1:10
	v_pk_add_f32 v[38:39], v[62:63], v[54:55]
	v_pk_add_f32 v[48:49], v[48:49], v[54:55] neg_lo:[0,1] neg_hi:[0,1]
	v_pk_fma_f32 v[38:39], v[38:39], 0.5, v[44:45] op_sel_hi:[1,0,1] neg_lo:[1,0,0] neg_hi:[1,0,0]
	v_pk_add_f32 v[44:45], v[66:67], v[62:63] neg_lo:[0,1] neg_hi:[0,1]
	v_pk_mul_f32 v[54:55], v[68:69], s[10:11] op_sel_hi:[1,0]
	v_pk_add_f32 v[44:45], v[44:45], v[48:49]
	v_pk_mul_f32 v[48:49], v[76:77], s[0:1] op_sel_hi:[1,0]
	v_mov_b32_e32 v61, v73
	v_pk_add_f32 v[62:63], v[38:39], v[48:49] op_sel:[0,1] op_sel_hi:[1,0] neg_lo:[0,1] neg_hi:[0,1]
	v_pk_add_f32 v[38:39], v[38:39], v[48:49] op_sel:[0,1] op_sel_hi:[1,0]
	v_pk_add_f32 v[48:49], v[62:63], v[54:55] op_sel:[0,1] op_sel_hi:[1,0]
	v_pk_add_f32 v[38:39], v[38:39], v[54:55] op_sel:[0,1] op_sel_hi:[1,0] neg_lo:[0,1] neg_hi:[0,1]
	v_mov_b32_e32 v54, v48
	v_mov_b32_e32 v55, v39
	;; [unrolled: 1-line block ×3, first 2 shown]
	v_pk_fma_f32 v[54:55], v[44:45], s[14:15], v[54:55] op_sel_hi:[1,0,1]
	v_pk_fma_f32 v[38:39], v[44:45], s[14:15], v[38:39] op_sel_hi:[1,0,1]
	v_mov_b32_e32 v41, v51
	ds_write2_b64 v177, v[54:55], v[38:39] offset0:20 offset1:30
	v_pk_fma_f32 v[38:39], v[82:83], s[14:15], v[60:61] op_sel_hi:[1,0,1]
	ds_write_b64 v177, v[38:39] offset:320
	v_pk_add_f32 v[38:39], v[40:41], v[78:79]
	v_pk_add_f32 v[44:45], v[74:75], v[56:57] neg_lo:[0,1] neg_hi:[0,1]
	v_pk_fma_f32 v[38:39], v[38:39], 0.5, v[46:47] op_sel_hi:[1,0,1] neg_lo:[1,0,0] neg_hi:[1,0,0]
	v_pk_mul_f32 v[48:49], v[44:45], s[0:1] op_sel_hi:[1,0]
	v_pk_add_f32 v[54:55], v[40:41], v[78:79] neg_lo:[0,1] neg_hi:[0,1]
	v_pk_add_f32 v[62:63], v[74:75], v[40:41] neg_lo:[0,1] neg_hi:[0,1]
	;; [unrolled: 1-line block ×3, first 2 shown]
	v_pk_add_f32 v[50:51], v[46:47], v[74:75]
	v_pk_mul_f32 v[60:61], v[54:55], s[10:11] op_sel_hi:[1,0]
	v_pk_add_f32 v[62:63], v[62:63], v[66:67]
	v_pk_add_f32 v[66:67], v[38:39], v[48:49] op_sel:[0,1] op_sel_hi:[1,0]
	v_pk_add_f32 v[38:39], v[38:39], v[48:49] op_sel:[0,1] op_sel_hi:[1,0] neg_lo:[0,1] neg_hi:[0,1]
	v_pk_add_f32 v[50:51], v[50:51], v[40:41]
	v_pk_add_f32 v[38:39], v[38:39], v[60:61] op_sel:[0,1] op_sel_hi:[1,0] neg_lo:[0,1] neg_hi:[0,1]
	v_pk_add_f32 v[48:49], v[66:67], v[60:61] op_sel:[0,1] op_sel_hi:[1,0]
	v_pk_add_f32 v[50:51], v[50:51], v[78:79]
	v_mov_b32_e32 v60, v48
	v_mov_b32_e32 v61, v39
	v_pk_add_f32 v[50:51], v[50:51], v[56:57]
	v_pk_fma_f32 v[60:61], v[62:63], s[14:15], v[60:61] op_sel_hi:[1,0,1]
	ds_write2_b64 v176, v[50:51], v[60:61] offset1:10
	v_pk_add_f32 v[50:51], v[74:75], v[56:57]
	v_pk_add_f32 v[40:41], v[40:41], v[74:75] neg_lo:[0,1] neg_hi:[0,1]
	v_pk_fma_f32 v[46:47], v[50:51], 0.5, v[46:47] op_sel_hi:[1,0,1] neg_lo:[1,0,0] neg_hi:[1,0,0]
	v_pk_add_f32 v[50:51], v[78:79], v[56:57] neg_lo:[0,1] neg_hi:[0,1]
	v_pk_mul_f32 v[44:45], v[44:45], s[10:11] op_sel_hi:[1,0]
	v_pk_add_f32 v[40:41], v[40:41], v[50:51]
	v_pk_mul_f32 v[50:51], v[54:55], s[0:1] op_sel_hi:[1,0]
	v_mov_b32_e32 v39, v49
	v_pk_add_f32 v[54:55], v[46:47], v[50:51] op_sel:[0,1] op_sel_hi:[1,0] neg_lo:[0,1] neg_hi:[0,1]
	v_pk_add_f32 v[46:47], v[46:47], v[50:51] op_sel:[0,1] op_sel_hi:[1,0]
	v_mov_b32_e32 v43, v53
	v_pk_add_f32 v[46:47], v[46:47], v[44:45] op_sel:[0,1] op_sel_hi:[1,0] neg_lo:[0,1] neg_hi:[0,1]
	v_pk_add_f32 v[44:45], v[54:55], v[44:45] op_sel:[0,1] op_sel_hi:[1,0]
	v_mov_b32_e32 v51, v47
	v_mov_b32_e32 v50, v44
	;; [unrolled: 1-line block ×3, first 2 shown]
	v_pk_fma_f32 v[50:51], v[40:41], s[14:15], v[50:51] op_sel_hi:[1,0,1]
	v_pk_fma_f32 v[40:41], v[40:41], s[14:15], v[46:47] op_sel_hi:[1,0,1]
	;; [unrolled: 1-line block ×3, first 2 shown]
	ds_write2_b64 v176, v[50:51], v[40:41] offset0:20 offset1:30
	ds_write_b64 v176, v[38:39] offset:320
	v_pk_add_f32 v[38:39], v[42:43], v[70:71]
	v_pk_add_f32 v[40:41], v[84:85], v[58:59] neg_lo:[0,1] neg_hi:[0,1]
	v_pk_fma_f32 v[38:39], v[38:39], 0.5, v[36:37] op_sel_hi:[1,0,1] neg_lo:[1,0,0] neg_hi:[1,0,0]
	v_pk_mul_f32 v[44:45], v[40:41], s[0:1] op_sel_hi:[1,0]
	v_pk_add_f32 v[46:47], v[42:43], v[70:71] neg_lo:[0,1] neg_hi:[0,1]
	v_pk_add_f32 v[50:51], v[84:85], v[42:43] neg_lo:[0,1] neg_hi:[0,1]
	;; [unrolled: 1-line block ×3, first 2 shown]
	v_pk_add_f32 v[52:53], v[36:37], v[84:85]
	v_pk_mul_f32 v[48:49], v[46:47], s[10:11] op_sel_hi:[1,0]
	v_pk_add_f32 v[50:51], v[50:51], v[54:55]
	v_pk_add_f32 v[54:55], v[38:39], v[44:45] op_sel:[0,1] op_sel_hi:[1,0]
	v_pk_add_f32 v[38:39], v[38:39], v[44:45] op_sel:[0,1] op_sel_hi:[1,0] neg_lo:[0,1] neg_hi:[0,1]
	v_pk_add_f32 v[52:53], v[52:53], v[42:43]
	v_pk_add_f32 v[38:39], v[38:39], v[48:49] op_sel:[0,1] op_sel_hi:[1,0] neg_lo:[0,1] neg_hi:[0,1]
	v_pk_add_f32 v[44:45], v[54:55], v[48:49] op_sel:[0,1] op_sel_hi:[1,0]
	v_pk_add_f32 v[52:53], v[52:53], v[70:71]
	v_mov_b32_e32 v48, v44
	v_mov_b32_e32 v49, v39
	v_pk_add_f32 v[52:53], v[52:53], v[58:59]
	v_pk_fma_f32 v[48:49], v[50:51], s[14:15], v[48:49] op_sel_hi:[1,0,1]
	ds_write2_b64 v175, v[52:53], v[48:49] offset1:10
	v_pk_add_f32 v[48:49], v[84:85], v[58:59]
	v_pk_add_f32 v[42:43], v[42:43], v[84:85] neg_lo:[0,1] neg_hi:[0,1]
	v_pk_fma_f32 v[36:37], v[48:49], 0.5, v[36:37] op_sel_hi:[1,0,1] neg_lo:[1,0,0] neg_hi:[1,0,0]
	v_pk_add_f32 v[48:49], v[70:71], v[58:59] neg_lo:[0,1] neg_hi:[0,1]
	v_pk_mul_f32 v[46:47], v[46:47], s[0:1] op_sel_hi:[1,0]
	v_pk_add_f32 v[42:43], v[42:43], v[48:49]
	v_pk_mul_f32 v[40:41], v[40:41], s[10:11] op_sel_hi:[1,0]
	v_pk_add_f32 v[48:49], v[36:37], v[46:47] op_sel:[0,1] op_sel_hi:[1,0] neg_lo:[0,1] neg_hi:[0,1]
	v_pk_add_f32 v[36:37], v[36:37], v[46:47] op_sel:[0,1] op_sel_hi:[1,0]
	v_mov_b32_e32 v39, v45
	v_pk_add_f32 v[36:37], v[36:37], v[40:41] op_sel:[0,1] op_sel_hi:[1,0] neg_lo:[0,1] neg_hi:[0,1]
	v_pk_add_f32 v[40:41], v[48:49], v[40:41] op_sel:[0,1] op_sel_hi:[1,0]
	v_mov_b32_e32 v47, v37
	v_mov_b32_e32 v46, v40
	;; [unrolled: 1-line block ×3, first 2 shown]
	v_pk_fma_f32 v[46:47], v[42:43], s[14:15], v[46:47] op_sel_hi:[1,0,1]
	v_pk_fma_f32 v[36:37], v[42:43], s[14:15], v[36:37] op_sel_hi:[1,0,1]
	ds_write2_b64 v175, v[46:47], v[36:37] offset0:20 offset1:30
	v_pk_fma_f32 v[36:37], v[50:51], s[14:15], v[38:39] op_sel_hi:[1,0,1]
	s_mov_b64 s[0:1], 0x78
	ds_write_b64 v175, v[36:37] offset:320
	v_lshl_add_u64 v[84:85], v[112:113], 0, s[0:1]
	v_mov_b32_e32 v36, 41
	s_waitcnt lgkmcnt(0)
	s_barrier
	global_load_dwordx4 v[40:43], v97, s[8:9] offset:320
	v_mul_lo_u16_sdwa v37, v84, v36 dst_sel:DWORD dst_unused:UNUSED_PAD src0_sel:BYTE_0 src1_sel:DWORD
	v_lshrrev_b16_e32 v37, 11, v37
	v_mul_lo_u16_e32 v37, 50, v37
	v_sub_u16_e32 v37, v84, v37
	v_and_b32_e32 v74, 0xff, v37
	s_mov_b64 s[0:1], 0x5a
	v_lshlrev_b32_e32 v37, 4, v74
	global_load_dwordx4 v[52:55], v37, s[8:9] offset:320
	v_lshl_add_u64 v[86:87], v[112:113], 0, s[0:1]
	v_mul_lo_u16_sdwa v36, v86, v36 dst_sel:DWORD dst_unused:UNUSED_PAD src0_sel:BYTE_0 src1_sel:DWORD
	v_lshrrev_b16_e32 v75, 11, v36
	v_mul_lo_u16_e32 v36, 50, v75
	v_sub_u16_e32 v76, v86, v36
	v_mov_b32_e32 v36, 4
	v_lshlrev_b32_sdwa v36, v36, v76 dst_sel:DWORD dst_unused:UNUSED_PAD src0_sel:DWORD src1_sel:BYTE_0
	global_load_dwordx4 v[48:51], v36, s[8:9] offset:320
	global_load_dwordx4 v[44:47], v97, s[8:9] offset:480
	s_movk_i32 s0, 0xffec
	s_mov_b32 s1, -1
	v_lshl_add_u64 v[36:37], v[112:113], 0, s[0:1]
	v_cmp_gt_u16_e64 s[0:1], 20, v112
	v_lshl_add_u32 v179, v74, 3, v174
	v_lshl_add_u32 v113, v112, 3, v174
	v_cndmask_b32_e64 v71, v37, v65, s[0:1]
	v_cndmask_b32_e64 v70, v36, v64, s[0:1]
	v_lshl_add_u64 v[36:37], v[70:71], 4, s[8:9]
	global_load_dwordx4 v[36:39], v[36:37], off offset:320
	ds_read2_b64 v[56:59], v121 offset0:120 offset1:150
	ds_read2_b64 v[60:63], v121 offset1:30
	ds_read2_b64 v[66:69], v96 offset0:44 offset1:74
	v_mov_b32_e32 v65, 0x96
	v_cmp_lt_u16_e64 s[0:1], 19, v112
	v_lshlrev_b32_e32 v64, 4, v64
	s_waitcnt vmcnt(4) lgkmcnt(2)
	v_pk_mul_f32 v[72:73], v[58:59], v[40:41] op_sel:[0,1]
	v_cndmask_b32_e64 v65, 0, v65, s[0:1]
	v_pk_fma_f32 v[88:89], v[58:59], v[40:41], v[72:73] op_sel:[0,0,1] op_sel_hi:[1,1,0] neg_lo:[0,0,1] neg_hi:[0,0,1]
	v_pk_fma_f32 v[58:59], v[58:59], v[40:41], v[72:73] op_sel:[0,0,1] op_sel_hi:[1,0,0]
	v_add_u32_e32 v65, v70, v65
	ds_read2_b64 v[70:73], v1 offset0:112 offset1:142
	v_mov_b32_e32 v58, v43
	v_mov_b32_e32 v89, v59
	s_waitcnt lgkmcnt(1)
	v_pk_mul_f32 v[58:59], v[66:67], v[58:59] op_sel_hi:[1,0]
	v_lshl_add_u32 v182, v65, 3, v174
	v_pk_fma_f32 v[90:91], v[66:67], v[42:43], v[58:59] op_sel:[0,0,1] op_sel_hi:[1,1,0] neg_lo:[0,0,1] neg_hi:[0,0,1]
	v_pk_fma_f32 v[58:59], v[66:67], v[42:43], v[58:59] op_sel:[0,0,1] op_sel_hi:[1,0,0]
	ds_read_b64 v[66:67], v121 offset:3360
	v_mul_u32_u24_e32 v65, 0x96, v75
	s_waitcnt vmcnt(3) lgkmcnt(1)
	v_pk_mul_f32 v[74:75], v[72:73], v[52:53] op_sel:[0,1]
	v_add_u32_sdwa v65, v65, v76 dst_sel:DWORD dst_unused:UNUSED_PAD src0_sel:DWORD src1_sel:BYTE_0
	v_pk_fma_f32 v[92:93], v[72:73], v[52:53], v[74:75] op_sel:[0,0,1] op_sel_hi:[1,1,0] neg_lo:[0,0,1] neg_hi:[0,0,1]
	v_pk_fma_f32 v[72:73], v[72:73], v[52:53], v[74:75] op_sel:[0,0,1] op_sel_hi:[1,0,0]
	s_waitcnt vmcnt(2)
	v_pk_mul_f32 v[80:81], v[70:71], v[48:49] op_sel:[0,1]
	v_mov_b32_e32 v72, v55
	v_mov_b32_e32 v93, v73
	s_waitcnt lgkmcnt(0)
	v_pk_mul_f32 v[72:73], v[66:67], v[72:73] op_sel_hi:[1,0]
	v_pk_fma_f32 v[98:99], v[70:71], v[48:49], v[80:81] op_sel:[0,0,1] op_sel_hi:[1,1,0] neg_lo:[0,0,1] neg_hi:[0,0,1]
	v_pk_fma_f32 v[94:95], v[66:67], v[54:55], v[72:73] op_sel:[0,0,1] op_sel_hi:[1,1,0] neg_lo:[0,0,1] neg_hi:[0,0,1]
	v_pk_fma_f32 v[66:67], v[66:67], v[54:55], v[72:73] op_sel:[0,0,1] op_sel_hi:[1,0,0]
	ds_read2_b64 v[72:75], v121 offset0:60 offset1:90
	ds_read2_b64 v[76:79], v96 offset0:104 offset1:134
	v_pk_fma_f32 v[70:71], v[70:71], v[48:49], v[80:81] op_sel:[0,0,1] op_sel_hi:[1,0,0]
	ds_read2_b64 v[80:83], v121 offset0:180 offset1:210
	v_mov_b32_e32 v70, v51
	v_mov_b32_e32 v99, v71
	s_waitcnt lgkmcnt(1)
	v_pk_mul_f32 v[70:71], v[78:79], v[70:71] op_sel_hi:[1,0]
	s_mov_b32 s0, 0x3f5db3d7
	v_pk_fma_f32 v[100:101], v[78:79], v[50:51], v[70:71] op_sel:[0,0,1] op_sel_hi:[1,1,0] neg_lo:[0,0,1] neg_hi:[0,0,1]
	v_pk_fma_f32 v[70:71], v[78:79], v[50:51], v[70:71] op_sel:[0,0,1] op_sel_hi:[1,0,0]
	s_waitcnt vmcnt(1) lgkmcnt(0)
	v_pk_mul_f32 v[78:79], v[82:83], v[44:45] op_sel:[0,1]
	v_mov_b32_e32 v91, v59
	v_pk_fma_f32 v[102:103], v[82:83], v[44:45], v[78:79] op_sel:[0,0,1] op_sel_hi:[1,1,0] neg_lo:[0,0,1] neg_hi:[0,0,1]
	v_pk_fma_f32 v[78:79], v[82:83], v[44:45], v[78:79] op_sel:[0,0,1] op_sel_hi:[1,0,0]
	v_pk_add_f32 v[58:59], v[60:61], v[88:89]
	v_mov_b32_e32 v78, v47
	v_mov_b32_e32 v103, v79
	v_pk_mul_f32 v[78:79], v[76:77], v[78:79] op_sel_hi:[1,0]
	v_pk_add_f32 v[58:59], v[58:59], v[90:91]
	v_pk_fma_f32 v[82:83], v[76:77], v[46:47], v[78:79] op_sel:[0,0,1] op_sel_hi:[1,1,0] neg_lo:[0,0,1] neg_hi:[0,0,1]
	v_pk_fma_f32 v[76:77], v[76:77], v[46:47], v[78:79] op_sel:[0,0,1] op_sel_hi:[1,0,0]
	s_nop 0
	v_mov_b32_e32 v83, v77
	v_pk_add_f32 v[76:77], v[102:103], v[82:83]
	v_pk_add_f32 v[78:79], v[102:103], v[82:83] neg_lo:[0,1] neg_hi:[0,1]
	v_pk_fma_f32 v[76:77], v[76:77], 0.5, v[72:73] op_sel_hi:[1,0,1] neg_lo:[1,0,0] neg_hi:[1,0,0]
	v_pk_mul_f32 v[78:79], v[78:79], s[0:1] op_sel_hi:[1,0]
	s_barrier
	v_pk_add_f32 v[130:131], v[76:77], v[78:79] op_sel:[0,1] op_sel_hi:[1,0] neg_lo:[0,1] neg_hi:[0,1]
	v_pk_add_f32 v[76:77], v[76:77], v[78:79] op_sel:[0,1] op_sel_hi:[1,0]
	s_waitcnt vmcnt(0)
	v_pk_mul_f32 v[78:79], v[80:81], v[36:37] op_sel:[0,1]
	s_nop 0
	v_pk_fma_f32 v[132:133], v[80:81], v[36:37], v[78:79] op_sel:[0,0,1] op_sel_hi:[1,1,0] neg_lo:[0,0,1] neg_hi:[0,0,1]
	v_pk_fma_f32 v[78:79], v[80:81], v[36:37], v[78:79] op_sel:[0,0,1] op_sel_hi:[1,0,0]
	v_mov_b32_e32 v101, v71
	v_mov_b32_e32 v78, v39
	;; [unrolled: 1-line block ×3, first 2 shown]
	v_pk_mul_f32 v[78:79], v[68:69], v[78:79] op_sel_hi:[1,0]
	v_lshl_add_u32 v181, v65, 3, v174
	v_pk_fma_f32 v[80:81], v[68:69], v[38:39], v[78:79] op_sel:[0,0,1] op_sel_hi:[1,1,0] neg_lo:[0,0,1] neg_hi:[0,0,1]
	v_pk_fma_f32 v[68:69], v[68:69], v[38:39], v[78:79] op_sel:[0,0,1] op_sel_hi:[1,0,0]
	v_pk_add_f32 v[78:79], v[88:89], v[90:91]
	v_mov_b32_e32 v81, v69
	v_pk_fma_f32 v[60:61], v[78:79], 0.5, v[60:61] op_sel_hi:[1,0,1] neg_lo:[1,0,0] neg_hi:[1,0,0]
	v_pk_add_f32 v[78:79], v[88:89], v[90:91] neg_lo:[0,1] neg_hi:[0,1]
	v_pk_add_f32 v[68:69], v[62:63], v[132:133]
	v_pk_mul_f32 v[78:79], v[78:79], s[0:1] op_sel_hi:[1,0]
	v_pk_add_f32 v[68:69], v[68:69], v[80:81]
	v_pk_add_f32 v[88:89], v[60:61], v[78:79] op_sel:[0,1] op_sel_hi:[1,0] neg_lo:[0,1] neg_hi:[0,1]
	v_pk_add_f32 v[60:61], v[60:61], v[78:79] op_sel:[0,1] op_sel_hi:[1,0]
	v_mov_b32_e32 v79, v89
	v_mov_b32_e32 v78, v60
	ds_write2_b64 v121, v[58:59], v[78:79] offset1:50
	v_mov_b32_e32 v89, v61
	v_pk_add_f32 v[58:59], v[132:133], v[80:81]
	v_pk_add_f32 v[60:61], v[132:133], v[80:81] neg_lo:[0,1] neg_hi:[0,1]
	v_pk_fma_f32 v[58:59], v[58:59], 0.5, v[62:63] op_sel_hi:[1,0,1] neg_lo:[1,0,0] neg_hi:[1,0,0]
	v_pk_mul_f32 v[60:61], v[60:61], s[0:1] op_sel_hi:[1,0]
	ds_write_b64 v121, v[88:89] offset:800
	v_pk_add_f32 v[62:63], v[58:59], v[60:61] op_sel:[0,1] op_sel_hi:[1,0]
	v_pk_add_f32 v[58:59], v[58:59], v[60:61] op_sel:[0,1] op_sel_hi:[1,0] neg_lo:[0,1] neg_hi:[0,1]
	v_mov_b32_e32 v60, v62
	v_mov_b32_e32 v61, v59
	;; [unrolled: 1-line block ×3, first 2 shown]
	ds_write_b64 v182, v[58:59] offset:800
	v_pk_add_f32 v[58:59], v[72:73], v[102:103]
	ds_write2_b64 v182, v[68:69], v[60:61] offset1:50
	v_pk_add_f32 v[58:59], v[58:59], v[82:83]
	v_mov_b32_e32 v60, v76
	v_mov_b32_e32 v61, v131
	ds_write2_b64 v121, v[58:59], v[60:61] offset0:160 offset1:210
	v_pk_add_f32 v[58:59], v[98:99], v[100:101]
	v_pk_add_f32 v[60:61], v[98:99], v[100:101] neg_lo:[0,1] neg_hi:[0,1]
	v_pk_fma_f32 v[58:59], v[58:59], 0.5, v[74:75] op_sel_hi:[1,0,1] neg_lo:[1,0,0] neg_hi:[1,0,0]
	v_pk_mul_f32 v[60:61], v[60:61], s[0:1] op_sel_hi:[1,0]
	v_mov_b32_e32 v95, v67
	v_pk_add_f32 v[62:63], v[58:59], v[60:61] op_sel:[0,1] op_sel_hi:[1,0]
	v_pk_add_f32 v[58:59], v[58:59], v[60:61] op_sel:[0,1] op_sel_hi:[1,0] neg_lo:[0,1] neg_hi:[0,1]
	v_mov_b32_e32 v131, v77
	v_mov_b32_e32 v61, v59
	;; [unrolled: 1-line block ×3, first 2 shown]
	ds_write_b64 v121, v[130:131] offset:2080
	ds_write_b64 v181, v[58:59] offset:800
	v_pk_add_f32 v[58:59], v[92:93], v[94:95]
	v_pk_add_f32 v[66:67], v[56:57], v[92:93]
	;; [unrolled: 1-line block ×3, first 2 shown]
	v_pk_fma_f32 v[56:57], v[58:59], 0.5, v[56:57] op_sel_hi:[1,0,1] neg_lo:[1,0,0] neg_hi:[1,0,0]
	v_pk_add_f32 v[58:59], v[92:93], v[94:95] neg_lo:[0,1] neg_hi:[0,1]
	v_pk_add_f32 v[70:71], v[70:71], v[100:101]
	v_mov_b32_e32 v60, v62
	v_pk_mul_f32 v[58:59], v[58:59], s[0:1] op_sel_hi:[1,0]
	ds_write2_b64 v181, v[70:71], v[60:61] offset1:50
	v_pk_add_f32 v[60:61], v[56:57], v[58:59] op_sel:[0,1] op_sel_hi:[1,0]
	v_pk_add_f32 v[56:57], v[56:57], v[58:59] op_sel:[0,1] op_sel_hi:[1,0] neg_lo:[0,1] neg_hi:[0,1]
	v_pk_add_f32 v[66:67], v[66:67], v[94:95]
	v_mov_b32_e32 v58, v60
	v_mov_b32_e32 v59, v57
	v_add_u32_e32 v57, 0x800, v179
	ds_write2_b64 v57, v[66:67], v[58:59] offset0:44 offset1:94
	v_mov_b32_e32 v57, v61
	ds_write_b64 v179, v[56:57] offset:3200
	v_lshlrev_b32_e32 v56, 4, v86
	s_waitcnt lgkmcnt(0)
	s_barrier
	global_load_dwordx4 v[60:63], v56, s[8:9] offset:1120
	v_lshlrev_b32_e32 v65, 4, v84
	global_load_dwordx4 v[56:59], v65, s[8:9] offset:1120
	global_load_dwordx4 v[72:75], v97, s[8:9] offset:1120
	;; [unrolled: 1-line block ×3, first 2 shown]
	s_nop 0
	global_load_dwordx4 v[64:67], v0, s[8:9] offset:1120
	ds_read2_b64 v[76:79], v1 offset0:112 offset1:142
	ds_read2_b64 v[84:87], v96 offset0:104 offset1:134
	ds_read2_b64 v[88:91], v121 offset0:60 offset1:90
	ds_read2_b64 v[92:95], v121 offset0:120 offset1:150
	ds_read_b64 v[0:1], v121 offset:3360
	s_add_u32 s8, s12, 0xe10
	s_addc_u32 s9, s13, 0
	s_waitcnt vmcnt(4) lgkmcnt(4)
	v_pk_mul_f32 v[80:81], v[76:77], v[60:61] op_sel:[0,1]
	s_nop 0
	v_pk_fma_f32 v[82:83], v[76:77], v[60:61], v[80:81] op_sel:[1,0,0] op_sel_hi:[0,1,1]
	v_pk_fma_f32 v[76:77], v[76:77], v[60:61], v[80:81] op_sel:[1,0,0] op_sel_hi:[0,0,1] neg_lo:[0,0,1] neg_hi:[0,0,1]
	v_mov_b32_e32 v76, v63
	s_waitcnt lgkmcnt(3)
	v_pk_mul_f32 v[80:81], v[86:87], v[76:77] op_sel_hi:[1,0]
	s_waitcnt vmcnt(3)
	v_mov_b32_e32 v76, v59
	v_pk_fma_f32 v[98:99], v[86:87], v[62:63], v[80:81] op_sel:[1,0,0] op_sel_hi:[0,1,1]
	v_pk_fma_f32 v[80:81], v[86:87], v[62:63], v[80:81] op_sel:[1,0,0] op_sel_hi:[0,0,1] neg_lo:[0,0,1] neg_hi:[0,0,1]
	v_pk_mul_f32 v[86:87], v[78:79], v[56:57] op_sel:[0,1]
	v_mov_b32_e32 v102, v77
	v_pk_fma_f32 v[100:101], v[78:79], v[56:57], v[86:87] op_sel:[0,0,1] op_sel_hi:[1,1,0] neg_lo:[0,0,1] neg_hi:[0,0,1]
	v_pk_fma_f32 v[78:79], v[78:79], v[56:57], v[86:87] op_sel:[0,0,1] op_sel_hi:[1,0,0]
	v_mov_b32_e32 v103, v82
	v_mov_b32_e32 v101, v79
	s_waitcnt lgkmcnt(0)
	v_pk_mul_f32 v[78:79], v[0:1], v[76:77] op_sel_hi:[1,0]
	v_mov_b32_e32 v134, v81
	v_pk_fma_f32 v[86:87], v[0:1], v[58:59], v[78:79] op_sel:[0,0,1] op_sel_hi:[1,1,0] neg_lo:[0,0,1] neg_hi:[0,0,1]
	v_pk_fma_f32 v[0:1], v[0:1], v[58:59], v[78:79] op_sel:[0,0,1] op_sel_hi:[1,0,0]
	v_mov_b32_e32 v135, v98
	v_mov_b32_e32 v83, v77
	;; [unrolled: 1-line block ×4, first 2 shown]
	v_pk_add_f32 v[0:1], v[102:103], v[134:135]
	v_pk_add_f32 v[76:77], v[82:83], v[98:99] neg_lo:[0,1] neg_hi:[0,1]
	v_pk_fma_f32 v[0:1], v[0:1], 0.5, v[90:91] op_sel_hi:[1,0,1] neg_lo:[1,0,0] neg_hi:[1,0,0]
	v_pk_add_f32 v[82:83], v[100:101], v[86:87] neg_lo:[0,1] neg_hi:[0,1]
	v_pk_fma_f32 v[80:81], v[76:77], s[0:1], v[0:1] op_sel_hi:[1,0,1]
	v_pk_fma_f32 v[78:79], v[76:77], s[0:1], v[0:1] op_sel_hi:[1,0,1] neg_lo:[1,0,0] neg_hi:[1,0,0]
	v_pk_add_f32 v[0:1], v[92:93], v[100:101]
	v_mov_b32_e32 v76, v80
	v_mov_b32_e32 v77, v79
	v_mov_b32_e32 v79, v81
	v_pk_add_f32 v[80:81], v[0:1], v[86:87]
	v_pk_add_f32 v[0:1], v[100:101], v[86:87]
	v_pk_mul_f32 v[82:83], v[82:83], s[0:1] op_sel_hi:[1,0]
	v_pk_fma_f32 v[0:1], v[0:1], 0.5, v[92:93] op_sel_hi:[1,0,1] neg_lo:[1,0,0] neg_hi:[1,0,0]
	ds_read2_b64 v[98:101], v121 offset1:30
	ds_read2_b64 v[130:133], v96 offset0:44 offset1:74
	v_pk_add_f32 v[86:87], v[0:1], v[82:83] op_sel:[0,1] op_sel_hi:[1,0]
	v_pk_add_f32 v[0:1], v[0:1], v[82:83] op_sel:[0,1] op_sel_hi:[1,0] neg_lo:[0,1] neg_hi:[0,1]
	v_mov_b32_e32 v82, v86
	v_mov_b32_e32 v83, v1
	;; [unrolled: 1-line block ×3, first 2 shown]
	s_waitcnt vmcnt(2)
	v_pk_mul_f32 v[86:87], v[94:95], v[72:73] op_sel:[0,1]
	s_nop 0
	v_pk_fma_f32 v[136:137], v[94:95], v[72:73], v[86:87] op_sel:[0,0,1] op_sel_hi:[1,1,0] neg_lo:[0,0,1] neg_hi:[0,0,1]
	v_pk_fma_f32 v[86:87], v[94:95], v[72:73], v[86:87] op_sel:[0,0,1] op_sel_hi:[1,0,0]
	ds_read2_b64 v[92:95], v121 offset0:180 offset1:210
	v_mov_b32_e32 v86, v75
	v_mov_b32_e32 v137, v87
	s_waitcnt lgkmcnt(1)
	v_pk_mul_f32 v[86:87], v[130:131], v[86:87] op_sel_hi:[1,0]
	s_nop 0
	v_pk_fma_f32 v[138:139], v[130:131], v[74:75], v[86:87] op_sel:[0,0,1] op_sel_hi:[1,1,0] neg_lo:[0,0,1] neg_hi:[0,0,1]
	v_pk_fma_f32 v[86:87], v[130:131], v[74:75], v[86:87] op_sel:[0,0,1] op_sel_hi:[1,0,0]
	s_nop 0
	v_mov_b32_e32 v139, v87
	v_pk_add_f32 v[86:87], v[98:99], v[136:137]
	s_nop 0
	v_pk_add_f32 v[130:131], v[86:87], v[138:139]
	s_waitcnt vmcnt(1)
	v_mov_b32_e32 v86, v71
	v_pk_mul_f32 v[86:87], v[132:133], v[86:87] op_sel_hi:[1,0]
	s_nop 0
	v_pk_fma_f32 v[140:141], v[132:133], v[70:71], v[86:87] op_sel:[0,0,1] op_sel_hi:[1,1,0] neg_lo:[0,0,1] neg_hi:[0,0,1]
	v_pk_fma_f32 v[86:87], v[132:133], v[70:71], v[86:87] op_sel:[0,0,1] op_sel_hi:[1,0,0]
	s_waitcnt lgkmcnt(0)
	v_pk_mul_f32 v[132:133], v[92:93], v[68:69] op_sel:[0,1]
	v_mov_b32_e32 v141, v87
	v_pk_fma_f32 v[142:143], v[92:93], v[68:69], v[132:133] op_sel:[0,0,1] op_sel_hi:[1,1,0] neg_lo:[0,0,1] neg_hi:[0,0,1]
	v_pk_fma_f32 v[92:93], v[92:93], v[68:69], v[132:133] op_sel:[0,0,1] op_sel_hi:[1,0,0]
	s_waitcnt vmcnt(0)
	v_pk_mul_f32 v[86:87], v[94:95], v[64:65] op_sel:[0,1]
	v_mov_b32_e32 v143, v93
	v_pk_fma_f32 v[92:93], v[94:95], v[64:65], v[86:87] op_sel:[0,0,1] op_sel_hi:[1,1,0] neg_lo:[0,0,1] neg_hi:[0,0,1]
	v_pk_fma_f32 v[86:87], v[94:95], v[64:65], v[86:87] op_sel:[0,0,1] op_sel_hi:[1,0,0]
	v_pk_add_f32 v[94:95], v[100:101], v[142:143]
	v_mov_b32_e32 v86, v67
	v_mov_b32_e32 v93, v87
	v_pk_mul_f32 v[86:87], v[84:85], v[86:87] op_sel_hi:[1,0]
	v_pk_add_f32 v[94:95], v[94:95], v[140:141]
	v_pk_fma_f32 v[132:133], v[84:85], v[66:67], v[86:87] op_sel:[0,0,1] op_sel_hi:[1,1,0] neg_lo:[0,0,1] neg_hi:[0,0,1]
	v_pk_fma_f32 v[84:85], v[84:85], v[66:67], v[86:87] op_sel:[0,0,1] op_sel_hi:[1,0,0]
	v_pk_add_f32 v[86:87], v[136:137], v[138:139]
	v_mov_b32_e32 v133, v85
	v_pk_fma_f32 v[86:87], v[86:87], 0.5, v[98:99] op_sel_hi:[1,0,1] neg_lo:[1,0,0] neg_hi:[1,0,0]
	v_pk_add_f32 v[98:99], v[136:137], v[138:139] neg_lo:[0,1] neg_hi:[0,1]
	v_pk_add_f32 v[84:85], v[88:89], v[92:93]
	v_pk_mul_f32 v[98:99], v[98:99], s[0:1] op_sel_hi:[1,0]
	v_pk_add_f32 v[84:85], v[84:85], v[132:133]
	v_pk_add_f32 v[136:137], v[86:87], v[98:99] op_sel:[0,1] op_sel_hi:[1,0]
	v_pk_add_f32 v[98:99], v[86:87], v[98:99] op_sel:[0,1] op_sel_hi:[1,0] neg_lo:[0,1] neg_hi:[0,1]
	v_mov_b32_e32 v86, v136
	v_mov_b32_e32 v87, v99
	;; [unrolled: 1-line block ×3, first 2 shown]
	v_pk_add_f32 v[136:137], v[142:143], v[140:141]
	s_nop 0
	v_pk_fma_f32 v[100:101], v[136:137], 0.5, v[100:101] op_sel_hi:[1,0,1] neg_lo:[1,0,0] neg_hi:[1,0,0]
	v_pk_add_f32 v[136:137], v[142:143], v[140:141] neg_lo:[0,1] neg_hi:[0,1]
	s_nop 0
	v_pk_mul_f32 v[136:137], v[136:137], s[0:1] op_sel_hi:[1,0]
	s_nop 0
	v_pk_add_f32 v[138:139], v[100:101], v[136:137] op_sel:[0,1] op_sel_hi:[1,0]
	v_pk_add_f32 v[100:101], v[100:101], v[136:137] op_sel:[0,1] op_sel_hi:[1,0] neg_lo:[0,1] neg_hi:[0,1]
	v_mov_b32_e32 v136, v138
	v_mov_b32_e32 v137, v101
	ds_write2_b64 v113, v[86:87], v[136:137] offset0:150 offset1:180
	v_mov_b32_e32 v101, v139
	v_add_u32_e32 v86, 0x800, v113
	ds_write2_b64 v86, v[98:99], v[100:101] offset0:44 offset1:74
	ds_write2_b64 v113, v[94:95], v[84:85] offset0:30 offset1:60
	v_pk_add_f32 v[84:85], v[92:93], v[132:133]
	s_nop 0
	v_pk_fma_f32 v[84:85], v[84:85], 0.5, v[88:89] op_sel_hi:[1,0,1] neg_lo:[1,0,0] neg_hi:[1,0,0]
	v_pk_add_f32 v[88:89], v[92:93], v[132:133] neg_lo:[0,1] neg_hi:[0,1]
	s_nop 0
	v_pk_mul_f32 v[88:89], v[88:89], s[0:1] op_sel_hi:[1,0]
	s_nop 0
	v_pk_add_f32 v[92:93], v[84:85], v[88:89] op_sel:[0,1] op_sel_hi:[1,0]
	v_pk_add_f32 v[84:85], v[84:85], v[88:89] op_sel:[0,1] op_sel_hi:[1,0] neg_lo:[0,1] neg_hi:[0,1]
	v_mov_b32_e32 v88, v92
	v_mov_b32_e32 v89, v85
	;; [unrolled: 1-line block ×3, first 2 shown]
	ds_write_b64 v113, v[84:85] offset:2880
	v_pk_add_f32 v[84:85], v[90:91], v[102:103]
	ds_write_b64 v113, v[88:89] offset:1680
	v_pk_add_f32 v[84:85], v[84:85], v[134:135]
	ds_write2_b64 v121, v[130:131], v[84:85] offset1:90
	ds_write_b64 v113, v[76:77] offset:1920
	ds_write_b64 v113, v[78:79] offset:3120
	;; [unrolled: 1-line block ×3, first 2 shown]
	ds_write2_b64 v96, v[82:83], v[0:1] offset0:14 offset1:164
	s_waitcnt lgkmcnt(0)
	s_barrier
	global_load_dwordx2 v[92:93], v[104:105], off offset:3600
	v_lshlrev_b32_e32 v84, 3, v112
	global_load_dwordx2 v[98:99], v84, s[8:9] offset:360
	global_load_dwordx2 v[100:101], v84, s[8:9] offset:720
	;; [unrolled: 1-line block ×9, first 2 shown]
	ds_read2_b64 v[88:91], v121 offset1:45
	s_waitcnt vmcnt(9) lgkmcnt(0)
	v_mul_f32_e32 v85, v89, v93
	v_mul_f32_e32 v143, v88, v93
	v_fma_f32 v142, v88, v92, -v85
	v_fmac_f32_e32 v143, v89, v92
	ds_read2_b64 v[92:95], v121 offset0:90 offset1:135
	s_waitcnt vmcnt(8)
	v_mul_f32_e32 v85, v91, v99
	v_mul_f32_e32 v89, v90, v99
	v_fma_f32 v88, v90, v98, -v85
	v_fmac_f32_e32 v89, v91, v98
	ds_write2_b64 v121, v[142:143], v[88:89] offset1:45
	ds_read2_b64 v[88:91], v121 offset0:180 offset1:225
	s_waitcnt vmcnt(7) lgkmcnt(2)
	v_mul_f32_e32 v85, v93, v101
	v_mul_f32_e32 v99, v92, v101
	v_fma_f32 v98, v92, v100, -v85
	v_fmac_f32_e32 v99, v93, v100
	s_waitcnt vmcnt(6)
	v_mul_f32_e32 v85, v95, v103
	v_mul_f32_e32 v93, v94, v103
	v_fma_f32 v92, v94, v102, -v85
	v_fmac_f32_e32 v93, v95, v102
	ds_write2_b64 v121, v[98:99], v[92:93] offset0:90 offset1:135
	s_waitcnt vmcnt(5) lgkmcnt(1)
	v_mul_f32_e32 v85, v89, v131
	v_mul_f32_e32 v99, v88, v131
	ds_read2_b64 v[92:95], v96 offset0:14 offset1:59
	v_fma_f32 v98, v88, v130, -v85
	v_fmac_f32_e32 v99, v89, v130
	s_waitcnt vmcnt(4)
	v_mul_f32_e32 v85, v91, v133
	v_mul_f32_e32 v89, v90, v133
	v_fma_f32 v88, v90, v132, -v85
	v_fmac_f32_e32 v89, v91, v132
	ds_write2_b64 v121, v[98:99], v[88:89] offset0:180 offset1:225
	ds_read2_b64 v[88:91], v96 offset0:104 offset1:149
	s_waitcnt vmcnt(3) lgkmcnt(2)
	v_mul_f32_e32 v85, v93, v135
	v_mul_f32_e32 v99, v92, v135
	v_fma_f32 v98, v92, v134, -v85
	v_fmac_f32_e32 v99, v93, v134
	s_waitcnt vmcnt(2)
	v_mul_f32_e32 v85, v95, v137
	v_mul_f32_e32 v93, v94, v137
	v_fma_f32 v92, v94, v136, -v85
	v_fmac_f32_e32 v93, v95, v136
	ds_write2_b64 v96, v[98:99], v[92:93] offset0:14 offset1:59
	s_waitcnt vmcnt(1) lgkmcnt(1)
	v_mul_f32_e32 v85, v89, v139
	v_mul_f32_e32 v93, v88, v139
	v_fma_f32 v92, v88, v138, -v85
	v_fmac_f32_e32 v93, v89, v138
	s_waitcnt vmcnt(0)
	v_mul_f32_e32 v85, v91, v141
	v_mul_f32_e32 v89, v90, v141
	v_fma_f32 v88, v90, v140, -v85
	v_fmac_f32_e32 v89, v91, v140
	ds_write2_b64 v96, v[92:93], v[88:89] offset0:104 offset1:149
	s_and_saveexec_b64 s[0:1], vcc
	s_cbranch_execz .LBB0_9
; %bb.8:
	v_mov_b32_e32 v85, 0
	v_lshl_add_u64 v[84:85], s[8:9], 0, v[84:85]
	global_load_dwordx2 v[92:93], v[84:85], off offset:240
	ds_read2_b64 v[88:91], v113 offset0:30 offset1:75
	s_waitcnt vmcnt(0) lgkmcnt(0)
	v_mul_f32_e32 v87, v89, v93
	v_mul_f32_e32 v95, v88, v93
	v_fma_f32 v94, v88, v92, -v87
	v_fmac_f32_e32 v95, v89, v92
	global_load_dwordx2 v[88:89], v[84:85], off offset:600
	s_waitcnt vmcnt(0)
	v_mul_f32_e32 v87, v91, v89
	v_mul_f32_e32 v93, v90, v89
	v_fma_f32 v92, v90, v88, -v87
	v_fmac_f32_e32 v93, v91, v88
	ds_write2_b64 v113, v[94:95], v[92:93] offset0:30 offset1:75
	global_load_dwordx2 v[92:93], v[84:85], off offset:960
	ds_read2_b64 v[88:91], v113 offset0:120 offset1:165
	s_waitcnt vmcnt(0) lgkmcnt(0)
	v_mul_f32_e32 v87, v89, v93
	v_mul_f32_e32 v95, v88, v93
	v_fma_f32 v94, v88, v92, -v87
	v_fmac_f32_e32 v95, v89, v92
	global_load_dwordx2 v[88:89], v[84:85], off offset:1320
	s_waitcnt vmcnt(0)
	v_mul_f32_e32 v87, v91, v89
	v_mul_f32_e32 v93, v90, v89
	v_fma_f32 v92, v90, v88, -v87
	v_fmac_f32_e32 v93, v91, v88
	ds_write2_b64 v113, v[94:95], v[92:93] offset0:120 offset1:165
	;; [unrolled: 14-line block ×4, first 2 shown]
	global_load_dwordx2 v[92:93], v[84:85], off offset:3120
	ds_read2_b64 v[88:91], v86 offset0:134 offset1:179
	global_load_dwordx2 v[84:85], v[84:85], off offset:3480
	s_waitcnt vmcnt(1) lgkmcnt(0)
	v_mul_f32_e32 v87, v89, v93
	v_mul_f32_e32 v95, v88, v93
	v_fma_f32 v94, v88, v92, -v87
	v_fmac_f32_e32 v95, v89, v92
	s_waitcnt vmcnt(0)
	v_mul_f32_e32 v87, v91, v85
	v_mul_f32_e32 v89, v90, v85
	v_fma_f32 v88, v90, v84, -v87
	v_fmac_f32_e32 v89, v91, v84
	ds_write2_b64 v86, v[94:95], v[88:89] offset0:134 offset1:179
.LBB0_9:
	s_or_b64 exec, exec, s[0:1]
	s_waitcnt lgkmcnt(0)
	s_barrier
	ds_read2_b64 v[84:87], v121 offset1:45
	ds_read2_b64 v[88:91], v121 offset0:90 offset1:135
	ds_read2_b64 v[100:103], v121 offset0:180 offset1:225
	;; [unrolled: 1-line block ×4, first 2 shown]
	s_and_saveexec_b64 s[0:1], vcc
	s_cbranch_execz .LBB0_11
; %bb.10:
	ds_read2_b64 v[76:79], v113 offset0:30 offset1:75
	ds_read2_b64 v[80:83], v113 offset0:120 offset1:165
	;; [unrolled: 1-line block ×3, first 2 shown]
	v_add_u32_e32 v8, 0x800, v113
	ds_read2_b64 v[4:7], v8 offset0:44 offset1:89
	ds_read2_b64 v[8:11], v8 offset0:134 offset1:179
.LBB0_11:
	s_or_b64 exec, exec, s[0:1]
	s_mov_b32 s9, 0x3f737871
	s_mov_b32 s0, 0x3e9e377a
	s_waitcnt lgkmcnt(1)
	v_pk_add_f32 v[188:189], v[100:101], v[92:93]
	s_waitcnt lgkmcnt(0)
	v_pk_add_f32 v[190:191], v[88:89], v[96:97] neg_lo:[0,1] neg_hi:[0,1]
	s_mov_b32 s12, s9
	s_mov_b32 s1, 0x3f167918
	v_pk_fma_f32 v[188:189], v[188:189], 0.5, v[84:85] op_sel_hi:[1,0,1] neg_lo:[1,0,0] neg_hi:[1,0,0]
	v_pk_mul_f32 v[192:193], v[190:191], s[12:13] op_sel_hi:[1,0]
	v_pk_add_f32 v[194:195], v[100:101], v[92:93] neg_lo:[0,1] neg_hi:[0,1]
	s_mov_b32 s8, s1
	v_pk_add_f32 v[198:199], v[88:89], v[100:101] neg_lo:[0,1] neg_hi:[0,1]
	v_pk_add_f32 v[200:201], v[96:97], v[92:93] neg_lo:[0,1] neg_hi:[0,1]
	v_pk_mul_f32 v[196:197], v[194:195], s[8:9] op_sel_hi:[1,0]
	v_pk_add_f32 v[198:199], v[198:199], v[200:201]
	v_pk_add_f32 v[200:201], v[188:189], v[192:193] op_sel:[0,1] op_sel_hi:[1,0] neg_lo:[0,1] neg_hi:[0,1]
	v_pk_add_f32 v[188:189], v[188:189], v[192:193] op_sel:[0,1] op_sel_hi:[1,0]
	v_pk_add_f32 v[192:193], v[200:201], v[196:197] op_sel:[0,1] op_sel_hi:[1,0] neg_lo:[0,1] neg_hi:[0,1]
	v_pk_add_f32 v[188:189], v[188:189], v[196:197] op_sel:[0,1] op_sel_hi:[1,0]
	v_pk_add_f32 v[196:197], v[102:103], v[94:95]
	v_pk_add_f32 v[200:201], v[90:91], v[98:99] neg_lo:[0,1] neg_hi:[0,1]
	v_pk_add_f32 v[206:207], v[90:91], v[102:103] neg_lo:[0,1] neg_hi:[0,1]
	;; [unrolled: 1-line block ×3, first 2 shown]
	v_pk_fma_f32 v[196:197], v[196:197], 0.5, v[86:87] op_sel_hi:[1,0,1] neg_lo:[1,0,0] neg_hi:[1,0,0]
	v_pk_mul_f32 v[202:203], v[200:201], s[12:13] op_sel_hi:[1,0]
	v_pk_add_f32 v[206:207], v[206:207], v[208:209]
	v_pk_add_f32 v[208:209], v[102:103], v[94:95] neg_lo:[0,1] neg_hi:[0,1]
	v_pk_add_f32 v[168:169], v[84:85], v[88:89]
	v_pk_add_f32 v[204:205], v[196:197], v[202:203] op_sel:[0,1] op_sel_hi:[1,0]
	v_pk_add_f32 v[196:197], v[196:197], v[202:203] op_sel:[0,1] op_sel_hi:[1,0] neg_lo:[0,1] neg_hi:[0,1]
	v_pk_mul_f32 v[202:203], v[208:209], s[8:9] op_sel_hi:[1,0]
	v_pk_add_f32 v[170:171], v[86:87], v[90:91]
	v_pk_add_f32 v[204:205], v[202:203], v[204:205] op_sel:[1,0] op_sel_hi:[0,1]
	v_pk_add_f32 v[196:197], v[196:197], v[202:203] op_sel:[0,1] op_sel_hi:[1,0] neg_lo:[0,1] neg_hi:[0,1]
	v_pk_add_f32 v[168:169], v[168:169], v[100:101]
	v_pk_add_f32 v[172:173], v[90:91], v[98:99]
	v_mov_b32_e32 v184, v102
	v_mov_b32_e32 v186, v90
	;; [unrolled: 1-line block ×3, first 2 shown]
	v_pk_add_f32 v[102:103], v[170:171], v[102:103]
	v_mov_b32_e32 v170, v91
	v_pk_add_f32 v[90:91], v[168:169], v[92:93]
	v_pk_fma_f32 v[214:215], v[206:207], s[0:1], v[204:205] op_sel_hi:[1,0,1]
	v_mov_b32_e32 v204, v196
	v_mov_b32_e32 v185, v94
	;; [unrolled: 1-line block ×3, first 2 shown]
	v_pk_add_f32 v[100:101], v[100:101], v[88:89] neg_lo:[0,1] neg_hi:[0,1]
	v_pk_add_f32 v[210:211], v[90:91], v[96:97]
	v_pk_add_f32 v[90:91], v[102:103], v[94:95]
	;; [unrolled: 1-line block ×3, first 2 shown]
	v_pk_fma_f32 v[88:89], v[206:207], s[0:1], v[204:205] op_sel_hi:[1,0,1]
	v_pk_add_f32 v[212:213], v[90:91], v[98:99]
	v_pk_mul_f32 v[90:91], v[88:89], s[8:9] op_sel_hi:[1,0]
	s_mov_b32 s10, 0x3f4f1bbd
	v_pk_fma_f32 v[204:205], v[88:89], s[10:11], v[90:91] op_sel:[0,0,1] op_sel_hi:[1,0,0] neg_lo:[0,0,1] neg_hi:[0,0,1]
	v_pk_fma_f32 v[90:91], v[88:89], s[10:11], v[90:91] op_sel:[0,0,1] op_sel_hi:[1,0,0]
	v_mov_b32_e32 v187, v98
	v_mov_b32_e32 v205, v91
	;; [unrolled: 1-line block ×4, first 2 shown]
	v_pk_fma_f32 v[216:217], v[198:199], s[0:1], v[90:91] op_sel_hi:[1,0,1]
	v_pk_add_f32 v[88:89], v[210:211], v[212:213]
	v_pk_add_f32 v[90:91], v[216:217], v[204:205]
	v_fma_f32 v183, -0.5, v172, v86
	v_fma_f32 v189, -0.5, v173, v87
	v_pk_add_f32 v[86:87], v[184:185], v[186:187] neg_lo:[0,1] neg_hi:[0,1]
	v_mov_b32_e32 v171, v99
	s_barrier
	ds_write_b128 v178, v[88:91]
	v_mov_b32_e32 v88, v87
	v_pk_add_f32 v[172:173], v[86:87], v[88:89]
	v_pk_add_f32 v[88:89], v[202:203], v[170:171] neg_lo:[0,1] neg_hi:[0,1]
	v_mov_b32_e32 v173, v201
	v_mov_b32_e32 v90, v89
	v_pk_add_f32 v[170:171], v[88:89], v[90:91]
	v_pk_add_f32 v[96:97], v[92:93], v[96:97] neg_lo:[0,1] neg_hi:[0,1]
	v_mov_b32_e32 v171, v200
	v_fmamk_f32 v186, v209, 0x3f737871, v183
	v_pk_mul_f32 v[172:173], v[172:173], s[0:1]
	v_pk_fma_f32 v[94:95], v[94:95], 0.5, v[84:85] op_sel_hi:[1,0,1] neg_lo:[1,0,0] neg_hi:[1,0,0]
	v_pk_fma_f32 v[184:185], v[206:207], s[0:1], v[196:197] op_sel_hi:[1,0,1]
	v_fmamk_f32 v192, v208, 0xbf737871, v189
	v_sub_f32_e32 v196, v186, v173
	v_pk_add_f32 v[186:187], v[100:101], v[96:97]
	v_pk_mul_f32 v[96:97], v[194:195], s[12:13] op_sel_hi:[1,0]
	v_pk_mul_f32 v[170:171], v[170:171], s[0:1]
	v_pk_add_f32 v[100:101], v[94:95], v[96:97] op_sel:[0,1] op_sel_hi:[1,0]
	v_pk_add_f32 v[94:95], v[94:95], v[96:97] op_sel:[0,1] op_sel_hi:[1,0] neg_lo:[0,1] neg_hi:[0,1]
	v_add_f32_e32 v97, v171, v192
	v_fmac_f32_e32 v189, 0x3f737871, v208
	v_add_f32_e32 v192, v170, v97
	v_pk_mul_f32 v[190:191], v[190:191], s[8:9] op_sel_hi:[1,0]
	s_mov_b32 s13, s0
	v_fmac_f32_e32 v183, 0xbf737871, v209
	v_add_f32_e32 v96, v172, v196
	v_pk_add_f32 v[194:195], v[94:95], v[190:191] op_sel:[0,1] op_sel_hi:[1,0]
	s_mov_b32 s8, s0
	v_pk_mul_f32 v[94:95], v[192:193], s[12:13] op_sel_hi:[0,1]
	v_sub_f32_e32 v171, v189, v171
	s_mov_b32 s16, 0xbf4f1bbd
	v_pk_add_f32 v[190:191], v[100:101], v[190:191] op_sel:[0,1] op_sel_hi:[1,0] neg_lo:[0,1] neg_hi:[0,1]
	v_pk_fma_f32 v[196:197], v[96:97], s[8:9], v[94:95] neg_lo:[0,0,1] neg_hi:[0,0,1]
	v_pk_fma_f32 v[100:101], v[96:97], s[8:9], v[94:95] op_sel_hi:[0,1,1]
	v_add_f32_e32 v96, v173, v183
	v_add_f32_e32 v170, v170, v171
	s_mov_b32 s18, 0xbf167918
	s_mov_b32 s19, s16
	v_add_f32_e32 v172, v172, v96
	s_mov_b32 s14, 0xbe9e377a
	s_mov_b32 s15, s9
	v_pk_mul_f32 v[170:171], v[170:171], s[12:13] op_sel_hi:[0,1]
	v_mov_b32_e32 v189, v193
	s_mov_b32 s17, s1
	v_pk_mul_f32 v[184:185], v[184:185], s[18:19] op_sel:[1,0]
	v_pk_fma_f32 v[200:201], v[172:173], s[14:15], v[170:171] op_sel_hi:[0,1,1] neg_lo:[0,0,1] neg_hi:[0,0,1]
	v_mov_b32_e32 v170, v190
	v_mov_b32_e32 v171, v195
	;; [unrolled: 1-line block ×3, first 2 shown]
	v_pk_fma_f32 v[188:189], v[198:199], s[0:1], v[188:189] op_sel_hi:[1,0,1]
	v_pk_fma_f32 v[192:193], v[214:215], s[16:17], v[184:185] op_sel_hi:[0,1,1]
	v_mov_b32_e32 v197, v101
	v_pk_fma_f32 v[202:203], v[186:187], s[0:1], v[170:171] op_sel_hi:[1,0,1]
	v_pk_fma_f32 v[190:191], v[186:187], s[0:1], v[194:195] op_sel_hi:[1,0,1]
	v_pk_add_f32 v[184:185], v[188:189], v[192:193]
	v_pk_add_f32 v[186:187], v[210:211], v[212:213] neg_lo:[0,1] neg_hi:[0,1]
	v_pk_add_f32 v[170:171], v[202:203], v[196:197]
	v_pk_add_f32 v[172:173], v[190:191], v[200:201]
	ds_write_b128 v178, v[184:187] offset:32
	v_pk_add_f32 v[184:185], v[216:217], v[204:205] neg_lo:[0,1] neg_hi:[0,1]
	v_pk_add_f32 v[186:187], v[202:203], v[196:197] neg_lo:[0,1] neg_hi:[0,1]
	v_mov_b32_e32 v166, v32
	v_mov_b32_e32 v167, v32
	;; [unrolled: 1-line block ×90, first 2 shown]
	ds_write_b128 v178, v[170:173] offset:16
	v_mov_b32_e32 v172, v64
	v_mov_b32_e32 v173, v64
	;; [unrolled: 1-line block ×6, first 2 shown]
	v_add_u32_e32 v183, 0x3c0, v121
	ds_write_b128 v178, v[184:187] offset:48
	v_pk_add_f32 v[184:185], v[190:191], v[200:201] neg_lo:[0,1] neg_hi:[0,1]
	v_pk_add_f32 v[186:187], v[188:189], v[192:193] neg_lo:[0,1] neg_hi:[0,1]
	ds_write_b128 v178, v[184:187] offset:64
	s_and_saveexec_b64 s[20:21], vcc
	s_cbranch_execz .LBB0_13
; %bb.12:
	v_mov_b32_e32 v184, v2
	v_mov_b32_e32 v185, v6
	;; [unrolled: 1-line block ×4, first 2 shown]
	v_pk_add_f32 v[184:185], v[184:185], v[186:187] neg_lo:[0,1] neg_hi:[0,1]
	v_mov_b32_e32 v216, v78
	v_mov_b32_e32 v178, v185
	v_pk_add_f32 v[186:187], v[184:185], v[178:179]
	v_pk_add_f32 v[184:185], v[82:83], v[10:11]
	v_mov_b32_e32 v217, v79
	v_fmac_f32_e32 v216, -0.5, v184
	v_fmac_f32_e32 v217, -0.5, v185
	v_pk_add_f32 v[184:185], v[76:77], v[80:81]
	v_mov_b32_e32 v188, v3
	v_mov_b32_e32 v189, v7
	;; [unrolled: 1-line block ×4, first 2 shown]
	v_pk_add_f32 v[184:185], v[184:185], v[0:1]
	v_pk_add_f32 v[204:205], v[80:81], v[0:1] neg_lo:[0,1] neg_hi:[0,1]
	v_pk_add_f32 v[206:207], v[8:9], v[4:5] neg_lo:[0,1] neg_hi:[0,1]
	;; [unrolled: 1-line block ×3, first 2 shown]
	v_pk_add_f32 v[190:191], v[78:79], v[82:83]
	v_pk_add_f32 v[184:185], v[184:185], v[4:5]
	;; [unrolled: 1-line block ×6, first 2 shown]
	s_mov_b32 s22, s9
	v_pk_fma_f32 v[78:79], v[206:207], 0.5, v[78:79] op_sel_hi:[1,0,1] neg_lo:[1,0,0] neg_hi:[1,0,0]
	v_pk_add_f32 v[206:207], v[82:83], v[10:11] neg_lo:[0,1] neg_hi:[0,1]
	v_pk_add_f32 v[184:185], v[184:185], v[6:7]
	s_mov_b32 s24, s1
	v_pk_mul_f32 v[208:209], v[206:207], s[22:23] op_sel_hi:[1,0]
	v_pk_add_f32 v[212:213], v[2:3], v[6:7] neg_lo:[0,1] neg_hi:[0,1]
	v_pk_add_f32 v[190:191], v[184:185], v[10:11]
	v_pk_mul_f32 v[214:215], v[212:213], s[24:25] op_sel_hi:[1,0]
	v_pk_add_f32 v[2:3], v[82:83], v[2:3] neg_lo:[0,1] neg_hi:[0,1]
	v_pk_add_f32 v[6:7], v[10:11], v[6:7] neg_lo:[0,1] neg_hi:[0,1]
	v_pk_add_f32 v[10:11], v[78:79], v[208:209] op_sel:[0,1] op_sel_hi:[1,0] neg_lo:[0,1] neg_hi:[0,1]
	v_mov_b32_e32 v178, v189
	v_pk_add_f32 v[2:3], v[2:3], v[6:7]
	v_pk_add_f32 v[10:11], v[10:11], v[214:215] op_sel:[0,1] op_sel_hi:[1,0] neg_lo:[0,1] neg_hi:[0,1]
	v_mov_b32_e32 v187, v207
	v_pk_add_f32 v[188:189], v[188:189], v[178:179]
	v_pk_add_f32 v[210:211], v[78:79], v[208:209] op_sel:[0,1] op_sel_hi:[1,0]
	v_pk_fma_f32 v[78:79], v[2:3], s[0:1], v[10:11] op_sel_hi:[1,0,1]
	v_pk_mul_f32 v[82:83], v[186:187], s[0:1]
	v_fmamk_f32 v11, v213, 0xbf737871, v216
	v_add_f32_e32 v11, v83, v11
	v_mov_b32_e32 v189, v206
	v_lshl_add_u32 v218, v180, 3, v174
	v_add_f32_e32 v174, v82, v11
	v_fmamk_f32 v11, v212, 0x3f737871, v217
	v_pk_mul_f32 v[186:187], v[188:189], s[0:1]
	v_fmac_f32_e32 v216, 0x3f737871, v213
	v_sub_f32_e32 v11, v11, v187
	v_add_f32_e32 v178, v186, v11
	v_sub_f32_e32 v11, v216, v83
	v_fmac_f32_e32 v217, 0xbf737871, v212
	v_pk_add_f32 v[194:195], v[0:1], v[4:5]
	v_pk_add_f32 v[196:197], v[80:81], v[8:9] neg_lo:[0,1] neg_hi:[0,1]
	v_pk_add_f32 v[210:211], v[214:215], v[210:211] op_sel:[1,0] op_sel_hi:[0,1]
	v_add_f32_e32 v82, v82, v11
	v_add_f32_e32 v11, v187, v217
	v_pk_fma_f32 v[194:195], v[194:195], 0.5, v[76:77] op_sel_hi:[1,0,1] neg_lo:[1,0,0] neg_hi:[1,0,0]
	v_pk_mul_f32 v[198:199], v[196:197], s[22:23] op_sel_hi:[1,0]
	v_pk_add_f32 v[200:201], v[0:1], v[4:5] neg_lo:[0,1] neg_hi:[0,1]
	v_add_f32_e32 v180, v186, v11
	v_mov_b32_e32 v11, v211
	v_pk_mul_f32 v[202:203], v[200:201], s[24:25] op_sel_hi:[1,0]
	v_pk_fma_f32 v[6:7], v[2:3], s[0:1], v[210:211] op_sel_hi:[1,0,1]
	v_pk_fma_f32 v[2:3], v[2:3], s[0:1], v[10:11] op_sel_hi:[1,0,1]
	v_pk_add_f32 v[10:11], v[194:195], v[198:199] op_sel:[0,1] op_sel_hi:[1,0] neg_lo:[0,1] neg_hi:[0,1]
	v_pk_add_f32 v[186:187], v[194:195], v[198:199] op_sel:[0,1] op_sel_hi:[1,0]
	v_pk_add_f32 v[10:11], v[10:11], v[202:203] op_sel:[0,1] op_sel_hi:[1,0] neg_lo:[0,1] neg_hi:[0,1]
	v_pk_add_f32 v[188:189], v[186:187], v[202:203] op_sel:[0,1] op_sel_hi:[1,0]
	v_mov_b32_e32 v186, v10
	v_mov_b32_e32 v187, v189
	v_pk_fma_f32 v[194:195], v[204:205], s[0:1], v[186:187] op_sel_hi:[1,0,1]
	v_pk_mul_f32 v[186:187], v[2:3], s[24:25] op_sel_hi:[1,0]
	v_pk_add_f32 v[0:1], v[0:1], v[80:81] neg_lo:[0,1] neg_hi:[0,1]
	v_pk_fma_f32 v[198:199], v[2:3], s[10:11], v[186:187] op_sel:[0,0,1] op_sel_hi:[1,0,0] neg_lo:[0,0,1] neg_hi:[0,0,1]
	v_pk_fma_f32 v[2:3], v[2:3], s[10:11], v[186:187] op_sel:[0,0,1] op_sel_hi:[1,0,0]
	v_mov_b32_e32 v189, v11
	v_mov_b32_e32 v199, v3
	v_pk_add_f32 v[2:3], v[4:5], v[8:9] neg_lo:[0,1] neg_hi:[0,1]
	v_pk_mul_f32 v[4:5], v[200:201], s[22:23] op_sel_hi:[1,0]
	v_pk_add_f32 v[2:3], v[0:1], v[2:3]
	v_pk_add_f32 v[0:1], v[80:81], v[8:9]
	v_pk_mul_f32 v[8:9], v[196:197], s[24:25] op_sel_hi:[1,0]
	v_pk_fma_f32 v[0:1], v[0:1], 0.5, v[76:77] op_sel_hi:[1,0,1] neg_lo:[1,0,0] neg_hi:[1,0,0]
	v_pk_add_f32 v[184:185], v[192:193], v[190:191]
	v_pk_add_f32 v[76:77], v[0:1], v[4:5] op_sel:[0,1] op_sel_hi:[1,0]
	v_pk_add_f32 v[0:1], v[0:1], v[4:5] op_sel:[0,1] op_sel_hi:[1,0] neg_lo:[0,1] neg_hi:[0,1]
	v_pk_add_f32 v[186:187], v[194:195], v[198:199]
	v_pk_add_f32 v[4:5], v[0:1], v[8:9] op_sel:[0,1] op_sel_hi:[1,0]
	v_pk_add_f32 v[8:9], v[76:77], v[8:9] op_sel:[0,1] op_sel_hi:[1,0] neg_lo:[0,1] neg_hi:[0,1]
	v_mov_b32_e32 v1, v5
	v_mov_b32_e32 v0, v8
	v_pk_fma_f32 v[76:77], v[2:3], s[0:1], v[0:1] op_sel_hi:[1,0,1]
	v_pk_mul_f32 v[0:1], v[180:181], s[12:13] op_sel_hi:[0,1]
	v_pk_fma_f32 v[80:81], v[82:83], s[8:9], v[0:1] neg_lo:[0,0,1] neg_hi:[0,0,1]
	v_pk_fma_f32 v[0:1], v[82:83], s[8:9], v[0:1] op_sel_hi:[0,1,1]
	v_pk_mul_f32 v[82:83], v[178:179], s[12:13] op_sel_hi:[0,1]
	v_mov_b32_e32 v5, v9
	v_mov_b32_e32 v81, v1
	v_pk_fma_f32 v[82:83], v[174:175], s[14:15], v[82:83] op_sel_hi:[0,1,1] neg_lo:[0,0,1] neg_hi:[0,0,1]
	v_pk_fma_f32 v[4:5], v[2:3], s[0:1], v[4:5] op_sel_hi:[1,0,1]
	v_pk_add_f32 v[0:1], v[76:77], v[80:81]
	v_pk_add_f32 v[2:3], v[4:5], v[82:83]
	ds_write_b128 v218, v[0:3] offset:16
	v_pk_mul_f32 v[0:1], v[78:79], s[18:19] op_sel:[1,0]
	v_pk_fma_f32 v[8:9], v[204:205], s[0:1], v[188:189] op_sel_hi:[1,0,1]
	v_pk_fma_f32 v[6:7], v[6:7], s[16:17], v[0:1] op_sel_hi:[0,1,1]
	v_pk_add_f32 v[0:1], v[8:9], v[6:7]
	v_pk_add_f32 v[2:3], v[192:193], v[190:191] neg_lo:[0,1] neg_hi:[0,1]
	ds_write_b128 v218, v[0:3] offset:32
	v_pk_add_f32 v[0:1], v[194:195], v[198:199] neg_lo:[0,1] neg_hi:[0,1]
	v_pk_add_f32 v[2:3], v[76:77], v[80:81] neg_lo:[0,1] neg_hi:[0,1]
	ds_write_b128 v218, v[0:3] offset:48
	v_pk_add_f32 v[0:1], v[4:5], v[82:83] neg_lo:[0,1] neg_hi:[0,1]
	v_pk_add_f32 v[2:3], v[8:9], v[6:7] neg_lo:[0,1] neg_hi:[0,1]
	ds_write_b128 v218, v[184:187]
	ds_write_b128 v218, v[0:3] offset:64
.LBB0_13:
	s_or_b64 exec, exec, s[20:21]
	s_waitcnt lgkmcnt(0)
	s_barrier
	ds_read2_b64 v[4:7], v121 offset0:60 offset1:90
	ds_read2_b64 v[8:11], v121 offset0:120 offset1:150
	v_add_u32_e32 v3, 0x400, v121
	ds_read2_b64 v[76:79], v3 offset0:112 offset1:142
	v_add_u32_e32 v2, 0x800, v121
	ds_read2_b64 v[80:83], v2 offset0:44 offset1:74
	ds_read_b64 v[0:1], v121 offset:3360
	s_waitcnt lgkmcnt(3)
	v_pk_mul_f32 v[32:33], v[32:33], v[10:11]
	v_pk_mul_f32 v[16:17], v[16:17], v[6:7]
	v_pk_fma_f32 v[184:185], v[166:167], v[10:11], v[32:33] op_sel:[0,0,1] op_sel_hi:[1,1,0]
	v_pk_fma_f32 v[10:11], v[166:167], v[10:11], v[32:33] op_sel:[0,0,1] op_sel_hi:[1,1,0] neg_lo:[0,0,1] neg_hi:[0,0,1]
	s_mov_b32 s8, s9
	v_mov_b32_e32 v185, v11
	s_waitcnt lgkmcnt(2)
	v_pk_mul_f32 v[10:11], v[34:35], v[76:77]
	s_mov_b32 s10, s1
	v_pk_fma_f32 v[166:167], v[164:165], v[76:77], v[10:11] op_sel:[0,0,1] op_sel_hi:[1,1,0]
	v_pk_fma_f32 v[10:11], v[164:165], v[76:77], v[10:11] op_sel:[0,0,1] op_sel_hi:[1,1,0] neg_lo:[0,0,1] neg_hi:[0,0,1]
	s_nop 0
	v_mov_b32_e32 v167, v11
	s_waitcnt lgkmcnt(1)
	v_pk_mul_f32 v[10:11], v[28:29], v[82:83]
	s_nop 0
	v_pk_fma_f32 v[76:77], v[162:163], v[82:83], v[10:11] op_sel:[0,0,1] op_sel_hi:[1,1,0]
	v_pk_fma_f32 v[10:11], v[162:163], v[82:83], v[10:11] op_sel:[0,0,1] op_sel_hi:[1,1,0] neg_lo:[0,0,1] neg_hi:[0,0,1]
	s_nop 0
	v_mov_b32_e32 v77, v11
	s_waitcnt lgkmcnt(0)
	v_pk_mul_f32 v[10:11], v[30:31], v[0:1]
	s_nop 0
	v_pk_fma_f32 v[82:83], v[160:161], v[0:1], v[10:11] op_sel:[0,0,1] op_sel_hi:[1,1,0]
	v_pk_fma_f32 v[0:1], v[160:161], v[0:1], v[10:11] op_sel:[0,0,1] op_sel_hi:[1,1,0] neg_lo:[0,0,1] neg_hi:[0,0,1]
	ds_read2_b64 v[28:31], v121 offset1:30
	ds_read2_b64 v[32:35], v121 offset0:180 offset1:210
	ds_read2_b64 v[160:163], v2 offset0:104 offset1:134
	v_pk_mul_f32 v[10:11], v[24:25], v[8:9]
	s_waitcnt lgkmcnt(0)
	v_pk_fma_f32 v[24:25], v[158:159], v[8:9], v[10:11] op_sel:[0,0,1] op_sel_hi:[1,1,0]
	v_pk_fma_f32 v[8:9], v[158:159], v[8:9], v[10:11] op_sel:[0,0,1] op_sel_hi:[1,1,0] neg_lo:[0,0,1] neg_hi:[0,0,1]
	s_barrier
	v_mov_b32_e32 v25, v9
	v_pk_mul_f32 v[8:9], v[26:27], v[34:35]
	v_pk_fma_f32 v[26:27], v[150:151], v[6:7], v[16:17] op_sel:[0,0,1] op_sel_hi:[1,1,0]
	v_pk_fma_f32 v[6:7], v[150:151], v[6:7], v[16:17] op_sel:[0,0,1] op_sel_hi:[1,1,0] neg_lo:[0,0,1] neg_hi:[0,0,1]
	v_pk_fma_f32 v[10:11], v[156:157], v[34:35], v[8:9] op_sel:[0,0,1] op_sel_hi:[1,1,0]
	v_mov_b32_e32 v27, v7
	v_pk_mul_f32 v[6:7], v[18:19], v[32:33]
	v_pk_fma_f32 v[8:9], v[156:157], v[34:35], v[8:9] op_sel:[0,0,1] op_sel_hi:[1,1,0] neg_lo:[0,0,1] neg_hi:[0,0,1]
	v_pk_fma_f32 v[16:17], v[148:149], v[32:33], v[6:7] op_sel:[0,0,1] op_sel_hi:[1,1,0]
	v_pk_fma_f32 v[6:7], v[148:149], v[32:33], v[6:7] op_sel:[0,0,1] op_sel_hi:[1,1,0] neg_lo:[0,0,1] neg_hi:[0,0,1]
	v_mov_b32_e32 v11, v9
	v_mov_b32_e32 v17, v7
	v_pk_mul_f32 v[6:7], v[12:13], v[78:79]
	v_pk_mul_f32 v[8:9], v[20:21], v[80:81]
	v_pk_fma_f32 v[12:13], v[146:147], v[78:79], v[6:7] op_sel:[0,0,1] op_sel_hi:[1,1,0]
	v_pk_fma_f32 v[6:7], v[146:147], v[78:79], v[6:7] op_sel:[0,0,1] op_sel_hi:[1,1,0] neg_lo:[0,0,1] neg_hi:[0,0,1]
	v_pk_fma_f32 v[20:21], v[154:155], v[80:81], v[8:9] op_sel:[0,0,1] op_sel_hi:[1,1,0]
	v_mov_b32_e32 v13, v7
	v_pk_mul_f32 v[6:7], v[14:15], v[160:161]
	v_pk_add_f32 v[18:19], v[16:17], v[12:13]
	v_pk_fma_f32 v[14:15], v[144:145], v[160:161], v[6:7] op_sel:[0,0,1] op_sel_hi:[1,1,0]
	v_pk_fma_f32 v[6:7], v[144:145], v[160:161], v[6:7] op_sel:[0,0,1] op_sel_hi:[1,1,0] neg_lo:[0,0,1] neg_hi:[0,0,1]
	v_pk_fma_f32 v[18:19], v[18:19], 0.5, v[28:29] op_sel_hi:[1,0,1] neg_lo:[1,0,0] neg_hi:[1,0,0]
	v_mov_b32_e32 v15, v7
	v_pk_add_f32 v[32:33], v[26:27], v[14:15] neg_lo:[0,1] neg_hi:[0,1]
	v_pk_add_f32 v[78:79], v[16:17], v[12:13] neg_lo:[0,1] neg_hi:[0,1]
	v_pk_mul_f32 v[34:35], v[32:33], s[8:9] op_sel_hi:[1,0]
	v_pk_add_f32 v[144:145], v[26:27], v[16:17] neg_lo:[0,1] neg_hi:[0,1]
	v_pk_add_f32 v[146:147], v[14:15], v[12:13] neg_lo:[0,1] neg_hi:[0,1]
	v_pk_fma_f32 v[8:9], v[154:155], v[80:81], v[8:9] op_sel:[0,0,1] op_sel_hi:[1,1,0] neg_lo:[0,0,1] neg_hi:[0,0,1]
	v_pk_add_f32 v[6:7], v[28:29], v[26:27]
	v_pk_mul_f32 v[80:81], v[78:79], s[10:11] op_sel_hi:[1,0]
	v_pk_add_f32 v[144:145], v[144:145], v[146:147]
	v_pk_add_f32 v[146:147], v[18:19], v[34:35] op_sel:[0,1] op_sel_hi:[1,0] neg_lo:[0,1] neg_hi:[0,1]
	v_pk_add_f32 v[18:19], v[18:19], v[34:35] op_sel:[0,1] op_sel_hi:[1,0]
	v_pk_add_f32 v[6:7], v[6:7], v[16:17]
	v_pk_add_f32 v[18:19], v[18:19], v[80:81] op_sel:[0,1] op_sel_hi:[1,0]
	v_pk_add_f32 v[34:35], v[146:147], v[80:81] op_sel:[0,1] op_sel_hi:[1,0] neg_lo:[0,1] neg_hi:[0,1]
	v_pk_add_f32 v[6:7], v[6:7], v[12:13]
	v_mov_b32_e32 v80, v34
	v_mov_b32_e32 v81, v19
	v_pk_add_f32 v[6:7], v[6:7], v[14:15]
	v_pk_fma_f32 v[80:81], v[144:145], s[0:1], v[80:81] op_sel_hi:[1,0,1]
	ds_write2_b64 v177, v[6:7], v[80:81] offset1:10
	v_pk_add_f32 v[6:7], v[26:27], v[14:15]
	v_pk_add_f32 v[16:17], v[16:17], v[26:27] neg_lo:[0,1] neg_hi:[0,1]
	v_pk_fma_f32 v[6:7], v[6:7], 0.5, v[28:29] op_sel_hi:[1,0,1] neg_lo:[1,0,0] neg_hi:[1,0,0]
	v_pk_add_f32 v[12:13], v[12:13], v[14:15] neg_lo:[0,1] neg_hi:[0,1]
	v_pk_mul_f32 v[14:15], v[78:79], s[8:9] op_sel_hi:[1,0]
	v_pk_add_f32 v[12:13], v[16:17], v[12:13]
	v_pk_mul_f32 v[16:17], v[32:33], s[10:11] op_sel_hi:[1,0]
	v_pk_add_f32 v[26:27], v[6:7], v[14:15] op_sel:[0,1] op_sel_hi:[1,0]
	v_pk_add_f32 v[6:7], v[6:7], v[14:15] op_sel:[0,1] op_sel_hi:[1,0] neg_lo:[0,1] neg_hi:[0,1]
	v_pk_add_f32 v[14:15], v[26:27], v[16:17] op_sel:[0,1] op_sel_hi:[1,0] neg_lo:[0,1] neg_hi:[0,1]
	v_pk_add_f32 v[6:7], v[6:7], v[16:17] op_sel:[0,1] op_sel_hi:[1,0]
	v_mov_b32_e32 v21, v9
	v_pk_mul_f32 v[8:9], v[22:23], v[162:163]
	v_mov_b32_e32 v16, v14
	v_mov_b32_e32 v17, v7
	;; [unrolled: 1-line block ×3, first 2 shown]
	v_pk_fma_f32 v[22:23], v[152:153], v[162:163], v[8:9] op_sel:[0,0,1] op_sel_hi:[1,1,0]
	v_pk_fma_f32 v[8:9], v[152:153], v[162:163], v[8:9] op_sel:[0,0,1] op_sel_hi:[1,1,0] neg_lo:[0,0,1] neg_hi:[0,0,1]
	v_pk_fma_f32 v[16:17], v[12:13], s[0:1], v[16:17] op_sel_hi:[1,0,1]
	v_pk_fma_f32 v[6:7], v[12:13], s[0:1], v[6:7] op_sel_hi:[1,0,1]
	v_mov_b32_e32 v19, v35
	v_mov_b32_e32 v23, v9
	ds_write2_b64 v177, v[16:17], v[6:7] offset0:20 offset1:30
	v_pk_fma_f32 v[6:7], v[144:145], s[0:1], v[18:19] op_sel_hi:[1,0,1]
	ds_write_b64 v177, v[6:7] offset:320
	v_pk_add_f32 v[6:7], v[10:11], v[20:21]
	v_pk_add_f32 v[12:13], v[24:25], v[22:23] neg_lo:[0,1] neg_hi:[0,1]
	v_pk_fma_f32 v[6:7], v[6:7], 0.5, v[30:31] op_sel_hi:[1,0,1] neg_lo:[1,0,0] neg_hi:[1,0,0]
	v_pk_mul_f32 v[14:15], v[12:13], s[8:9] op_sel_hi:[1,0]
	v_pk_add_f32 v[16:17], v[10:11], v[20:21] neg_lo:[0,1] neg_hi:[0,1]
	v_pk_add_f32 v[26:27], v[24:25], v[10:11] neg_lo:[0,1] neg_hi:[0,1]
	;; [unrolled: 1-line block ×3, first 2 shown]
	v_pk_add_f32 v[8:9], v[30:31], v[24:25]
	v_pk_mul_f32 v[18:19], v[16:17], s[10:11] op_sel_hi:[1,0]
	v_pk_add_f32 v[26:27], v[26:27], v[28:29]
	v_pk_add_f32 v[28:29], v[6:7], v[14:15] op_sel:[0,1] op_sel_hi:[1,0] neg_lo:[0,1] neg_hi:[0,1]
	v_pk_add_f32 v[6:7], v[6:7], v[14:15] op_sel:[0,1] op_sel_hi:[1,0]
	v_pk_add_f32 v[8:9], v[8:9], v[10:11]
	v_pk_add_f32 v[6:7], v[6:7], v[18:19] op_sel:[0,1] op_sel_hi:[1,0]
	v_pk_add_f32 v[14:15], v[28:29], v[18:19] op_sel:[0,1] op_sel_hi:[1,0] neg_lo:[0,1] neg_hi:[0,1]
	v_pk_add_f32 v[8:9], v[8:9], v[20:21]
	v_mov_b32_e32 v18, v14
	v_mov_b32_e32 v19, v7
	v_pk_add_f32 v[8:9], v[8:9], v[22:23]
	v_pk_fma_f32 v[18:19], v[26:27], s[0:1], v[18:19] op_sel_hi:[1,0,1]
	ds_write2_b64 v176, v[8:9], v[18:19] offset1:10
	v_pk_add_f32 v[8:9], v[24:25], v[22:23]
	v_pk_add_f32 v[10:11], v[10:11], v[24:25] neg_lo:[0,1] neg_hi:[0,1]
	v_pk_fma_f32 v[8:9], v[8:9], 0.5, v[30:31] op_sel_hi:[1,0,1] neg_lo:[1,0,0] neg_hi:[1,0,0]
	v_pk_add_f32 v[18:19], v[20:21], v[22:23] neg_lo:[0,1] neg_hi:[0,1]
	v_pk_mul_f32 v[16:17], v[16:17], s[8:9] op_sel_hi:[1,0]
	v_pk_add_f32 v[10:11], v[10:11], v[18:19]
	v_pk_mul_f32 v[12:13], v[12:13], s[10:11] op_sel_hi:[1,0]
	v_pk_add_f32 v[18:19], v[8:9], v[16:17] op_sel:[0,1] op_sel_hi:[1,0]
	v_pk_add_f32 v[8:9], v[8:9], v[16:17] op_sel:[0,1] op_sel_hi:[1,0] neg_lo:[0,1] neg_hi:[0,1]
	v_mov_b32_e32 v7, v15
	v_pk_add_f32 v[8:9], v[8:9], v[12:13] op_sel:[0,1] op_sel_hi:[1,0]
	v_pk_add_f32 v[12:13], v[18:19], v[12:13] op_sel:[0,1] op_sel_hi:[1,0] neg_lo:[0,1] neg_hi:[0,1]
	v_mov_b32_e32 v17, v9
	v_mov_b32_e32 v16, v12
	;; [unrolled: 1-line block ×4, first 2 shown]
	v_pk_fma_f32 v[16:17], v[10:11], s[0:1], v[16:17] op_sel_hi:[1,0,1]
	v_pk_fma_f32 v[8:9], v[10:11], s[0:1], v[8:9] op_sel_hi:[1,0,1]
	;; [unrolled: 1-line block ×3, first 2 shown]
	ds_write2_b64 v176, v[16:17], v[8:9] offset0:20 offset1:30
	ds_write_b64 v176, v[6:7] offset:320
	v_pk_add_f32 v[6:7], v[166:167], v[76:77]
	v_pk_add_f32 v[8:9], v[184:185], v[82:83] neg_lo:[0,1] neg_hi:[0,1]
	v_pk_fma_f32 v[6:7], v[6:7], 0.5, v[4:5] op_sel_hi:[1,0,1] neg_lo:[1,0,0] neg_hi:[1,0,0]
	v_pk_mul_f32 v[10:11], v[8:9], s[8:9] op_sel_hi:[1,0]
	v_pk_add_f32 v[12:13], v[166:167], v[76:77] neg_lo:[0,1] neg_hi:[0,1]
	v_pk_add_f32 v[16:17], v[184:185], v[166:167] neg_lo:[0,1] neg_hi:[0,1]
	;; [unrolled: 1-line block ×3, first 2 shown]
	v_pk_add_f32 v[0:1], v[4:5], v[184:185]
	v_pk_mul_f32 v[14:15], v[12:13], s[10:11] op_sel_hi:[1,0]
	v_pk_add_f32 v[16:17], v[16:17], v[18:19]
	v_pk_add_f32 v[18:19], v[6:7], v[10:11] op_sel:[0,1] op_sel_hi:[1,0] neg_lo:[0,1] neg_hi:[0,1]
	v_pk_add_f32 v[6:7], v[6:7], v[10:11] op_sel:[0,1] op_sel_hi:[1,0]
	v_pk_add_f32 v[0:1], v[0:1], v[166:167]
	v_pk_add_f32 v[6:7], v[6:7], v[14:15] op_sel:[0,1] op_sel_hi:[1,0]
	v_pk_add_f32 v[10:11], v[18:19], v[14:15] op_sel:[0,1] op_sel_hi:[1,0] neg_lo:[0,1] neg_hi:[0,1]
	v_pk_add_f32 v[0:1], v[0:1], v[76:77]
	v_mov_b32_e32 v14, v10
	v_mov_b32_e32 v15, v7
	v_pk_add_f32 v[0:1], v[0:1], v[82:83]
	v_pk_fma_f32 v[14:15], v[16:17], s[0:1], v[14:15] op_sel_hi:[1,0,1]
	ds_write2_b64 v175, v[0:1], v[14:15] offset1:10
	v_pk_add_f32 v[0:1], v[184:185], v[82:83]
	v_pk_add_f32 v[14:15], v[76:77], v[82:83] neg_lo:[0,1] neg_hi:[0,1]
	v_pk_fma_f32 v[0:1], v[0:1], 0.5, v[4:5] op_sel_hi:[1,0,1] neg_lo:[1,0,0] neg_hi:[1,0,0]
	v_pk_add_f32 v[4:5], v[166:167], v[184:185] neg_lo:[0,1] neg_hi:[0,1]
	v_pk_mul_f32 v[12:13], v[12:13], s[8:9] op_sel_hi:[1,0]
	v_pk_add_f32 v[4:5], v[4:5], v[14:15]
	v_pk_mul_f32 v[8:9], v[8:9], s[10:11] op_sel_hi:[1,0]
	v_pk_add_f32 v[14:15], v[0:1], v[12:13] op_sel:[0,1] op_sel_hi:[1,0]
	v_pk_add_f32 v[0:1], v[0:1], v[12:13] op_sel:[0,1] op_sel_hi:[1,0] neg_lo:[0,1] neg_hi:[0,1]
	v_mov_b32_e32 v7, v11
	v_pk_add_f32 v[0:1], v[0:1], v[8:9] op_sel:[0,1] op_sel_hi:[1,0]
	v_pk_add_f32 v[8:9], v[14:15], v[8:9] op_sel:[0,1] op_sel_hi:[1,0] neg_lo:[0,1] neg_hi:[0,1]
	v_mov_b32_e32 v13, v1
	v_mov_b32_e32 v12, v8
	;; [unrolled: 1-line block ×3, first 2 shown]
	v_pk_fma_f32 v[12:13], v[4:5], s[0:1], v[12:13] op_sel_hi:[1,0,1]
	v_pk_fma_f32 v[0:1], v[4:5], s[0:1], v[0:1] op_sel_hi:[1,0,1]
	ds_write2_b64 v175, v[12:13], v[0:1] offset0:20 offset1:30
	v_pk_fma_f32 v[0:1], v[16:17], s[0:1], v[6:7] op_sel_hi:[1,0,1]
	ds_write_b64 v175, v[0:1] offset:320
	s_waitcnt lgkmcnt(0)
	s_barrier
	ds_read2_b64 v[4:7], v121 offset0:120 offset1:150
	ds_read2_b64 v[8:11], v121 offset1:30
	ds_read2_b64 v[12:15], v2 offset0:44 offset1:74
	s_mov_b32 s0, 0x3f5db3d7
	v_mov_b32_e32 v0, s2
	v_mov_b32_e32 v1, s3
	s_waitcnt lgkmcnt(2)
	v_pk_mul_f32 v[16:17], v[40:41], v[6:7]
	s_nop 0
	v_pk_fma_f32 v[30:31], v[142:143], v[6:7], v[16:17] op_sel:[0,0,1] op_sel_hi:[1,1,0]
	v_pk_fma_f32 v[6:7], v[142:143], v[6:7], v[16:17] op_sel:[0,0,1] op_sel_hi:[1,1,0] neg_lo:[0,0,1] neg_hi:[0,0,1]
	ds_read2_b64 v[16:19], v3 offset0:112 offset1:142
	v_mov_b32_e32 v31, v7
	s_waitcnt lgkmcnt(1)
	v_pk_mul_f32 v[6:7], v[42:43], v[12:13]
	s_waitcnt lgkmcnt(0)
	v_pk_mul_f32 v[20:21], v[52:53], v[18:19]
	v_pk_fma_f32 v[32:33], v[140:141], v[12:13], v[6:7] op_sel:[0,0,1] op_sel_hi:[1,1,0]
	v_pk_fma_f32 v[6:7], v[140:141], v[12:13], v[6:7] op_sel:[0,0,1] op_sel_hi:[1,1,0] neg_lo:[0,0,1] neg_hi:[0,0,1]
	ds_read_b64 v[12:13], v121 offset:3360
	v_pk_fma_f32 v[34:35], v[138:139], v[18:19], v[20:21] op_sel:[0,0,1] op_sel_hi:[1,1,0]
	v_pk_fma_f32 v[18:19], v[138:139], v[18:19], v[20:21] op_sel:[0,0,1] op_sel_hi:[1,1,0] neg_lo:[0,0,1] neg_hi:[0,0,1]
	v_pk_mul_f32 v[26:27], v[48:49], v[16:17]
	v_mov_b32_e32 v35, v19
	s_waitcnt lgkmcnt(0)
	v_pk_mul_f32 v[18:19], v[54:55], v[12:13]
	v_pk_fma_f32 v[42:43], v[134:135], v[16:17], v[26:27] op_sel:[0,0,1] op_sel_hi:[1,1,0]
	v_pk_fma_f32 v[40:41], v[136:137], v[12:13], v[18:19] op_sel:[0,0,1] op_sel_hi:[1,1,0]
	v_pk_fma_f32 v[12:13], v[136:137], v[12:13], v[18:19] op_sel:[0,0,1] op_sel_hi:[1,1,0] neg_lo:[0,0,1] neg_hi:[0,0,1]
	ds_read2_b64 v[18:21], v121 offset0:60 offset1:90
	ds_read2_b64 v[22:25], v2 offset0:104 offset1:134
	v_pk_fma_f32 v[16:17], v[134:135], v[16:17], v[26:27] op_sel:[0,0,1] op_sel_hi:[1,1,0] neg_lo:[0,0,1] neg_hi:[0,0,1]
	ds_read2_b64 v[26:29], v121 offset0:180 offset1:210
	v_mov_b32_e32 v43, v17
	v_mov_b32_e32 v33, v7
	s_waitcnt lgkmcnt(1)
	v_pk_mul_f32 v[16:17], v[50:51], v[24:25]
	v_pk_add_f32 v[6:7], v[8:9], v[30:31]
	v_pk_fma_f32 v[48:49], v[132:133], v[24:25], v[16:17] op_sel:[0,0,1] op_sel_hi:[1,1,0]
	v_pk_fma_f32 v[16:17], v[132:133], v[24:25], v[16:17] op_sel:[0,0,1] op_sel_hi:[1,1,0] neg_lo:[0,0,1] neg_hi:[0,0,1]
	s_waitcnt lgkmcnt(0)
	v_pk_mul_f32 v[24:25], v[44:45], v[28:29]
	v_pk_add_f32 v[6:7], v[6:7], v[32:33]
	v_pk_fma_f32 v[44:45], v[130:131], v[28:29], v[24:25] op_sel:[0,0,1] op_sel_hi:[1,1,0]
	v_pk_fma_f32 v[24:25], v[130:131], v[28:29], v[24:25] op_sel:[0,0,1] op_sel_hi:[1,1,0] neg_lo:[0,0,1] neg_hi:[0,0,1]
	s_nop 0
	v_mov_b32_e32 v45, v25
	v_pk_mul_f32 v[24:25], v[46:47], v[22:23]
	s_barrier
	v_pk_fma_f32 v[28:29], v[168:169], v[22:23], v[24:25] op_sel:[0,0,1] op_sel_hi:[1,1,0]
	v_pk_fma_f32 v[22:23], v[168:169], v[22:23], v[24:25] op_sel:[0,0,1] op_sel_hi:[1,1,0] neg_lo:[0,0,1] neg_hi:[0,0,1]
	s_nop 0
	v_mov_b32_e32 v29, v23
	v_pk_add_f32 v[22:23], v[44:45], v[28:29]
	v_pk_add_f32 v[24:25], v[44:45], v[28:29] neg_lo:[0,1] neg_hi:[0,1]
	v_pk_fma_f32 v[22:23], v[22:23], 0.5, v[18:19] op_sel_hi:[1,0,1] neg_lo:[1,0,0] neg_hi:[1,0,0]
	v_pk_mul_f32 v[24:25], v[24:25], s[0:1] op_sel_hi:[1,0]
	v_mov_b32_e32 v49, v17
	v_pk_add_f32 v[46:47], v[22:23], v[24:25] op_sel:[0,1] op_sel_hi:[1,0]
	v_pk_add_f32 v[22:23], v[22:23], v[24:25] op_sel:[0,1] op_sel_hi:[1,0] neg_lo:[0,1] neg_hi:[0,1]
	v_pk_mul_f32 v[24:25], v[36:37], v[26:27]
	v_mov_b32_e32 v41, v13
	v_pk_fma_f32 v[36:37], v[98:99], v[26:27], v[24:25] op_sel:[0,0,1] op_sel_hi:[1,1,0]
	v_pk_fma_f32 v[24:25], v[98:99], v[26:27], v[24:25] op_sel:[0,0,1] op_sel_hi:[1,1,0] neg_lo:[0,0,1] neg_hi:[0,0,1]
	v_pk_add_f32 v[12:13], v[4:5], v[34:35]
	v_mov_b32_e32 v37, v25
	v_pk_mul_f32 v[24:25], v[38:39], v[14:15]
	v_pk_add_f32 v[16:17], v[20:21], v[42:43]
	v_pk_fma_f32 v[26:27], v[102:103], v[14:15], v[24:25] op_sel:[0,0,1] op_sel_hi:[1,1,0]
	v_pk_fma_f32 v[14:15], v[102:103], v[14:15], v[24:25] op_sel:[0,0,1] op_sel_hi:[1,1,0] neg_lo:[0,0,1] neg_hi:[0,0,1]
	v_pk_add_f32 v[24:25], v[30:31], v[32:33]
	v_mov_b32_e32 v27, v15
	v_pk_fma_f32 v[8:9], v[24:25], 0.5, v[8:9] op_sel_hi:[1,0,1] neg_lo:[1,0,0] neg_hi:[1,0,0]
	v_pk_add_f32 v[24:25], v[30:31], v[32:33] neg_lo:[0,1] neg_hi:[0,1]
	v_pk_add_f32 v[14:15], v[10:11], v[36:37]
	v_pk_mul_f32 v[24:25], v[24:25], s[0:1] op_sel_hi:[1,0]
	v_pk_add_f32 v[14:15], v[14:15], v[26:27]
	v_pk_add_f32 v[30:31], v[8:9], v[24:25] op_sel:[0,1] op_sel_hi:[1,0]
	v_pk_add_f32 v[8:9], v[8:9], v[24:25] op_sel:[0,1] op_sel_hi:[1,0] neg_lo:[0,1] neg_hi:[0,1]
	v_mov_b32_e32 v25, v31
	v_mov_b32_e32 v24, v8
	ds_write2_b64 v121, v[6:7], v[24:25] offset1:50
	v_mov_b32_e32 v31, v9
	v_pk_add_f32 v[6:7], v[36:37], v[26:27]
	v_pk_add_f32 v[8:9], v[36:37], v[26:27] neg_lo:[0,1] neg_hi:[0,1]
	v_pk_fma_f32 v[6:7], v[6:7], 0.5, v[10:11] op_sel_hi:[1,0,1] neg_lo:[1,0,0] neg_hi:[1,0,0]
	v_pk_mul_f32 v[8:9], v[8:9], s[0:1] op_sel_hi:[1,0]
	ds_write_b64 v121, v[30:31] offset:800
	v_pk_add_f32 v[10:11], v[6:7], v[8:9] op_sel:[0,1] op_sel_hi:[1,0] neg_lo:[0,1] neg_hi:[0,1]
	v_pk_add_f32 v[6:7], v[6:7], v[8:9] op_sel:[0,1] op_sel_hi:[1,0]
	v_mov_b32_e32 v8, v10
	v_mov_b32_e32 v9, v7
	;; [unrolled: 1-line block ×3, first 2 shown]
	ds_write_b64 v182, v[6:7] offset:800
	v_pk_add_f32 v[6:7], v[18:19], v[44:45]
	ds_write2_b64 v182, v[14:15], v[8:9] offset1:50
	v_pk_add_f32 v[6:7], v[6:7], v[28:29]
	v_mov_b32_e32 v8, v22
	v_mov_b32_e32 v9, v47
	ds_write2_b64 v121, v[6:7], v[8:9] offset0:160 offset1:210
	v_pk_add_f32 v[6:7], v[42:43], v[48:49]
	v_pk_add_f32 v[8:9], v[42:43], v[48:49] neg_lo:[0,1] neg_hi:[0,1]
	v_pk_fma_f32 v[6:7], v[6:7], 0.5, v[20:21] op_sel_hi:[1,0,1] neg_lo:[1,0,0] neg_hi:[1,0,0]
	v_pk_mul_f32 v[8:9], v[8:9], s[0:1] op_sel_hi:[1,0]
	v_mov_b32_e32 v47, v23
	v_pk_add_f32 v[10:11], v[6:7], v[8:9] op_sel:[0,1] op_sel_hi:[1,0] neg_lo:[0,1] neg_hi:[0,1]
	v_pk_add_f32 v[6:7], v[6:7], v[8:9] op_sel:[0,1] op_sel_hi:[1,0]
	ds_write_b64 v121, v[46:47] offset:2080
	v_mov_b32_e32 v9, v7
	v_mov_b32_e32 v7, v11
	ds_write_b64 v181, v[6:7] offset:800
	v_pk_add_f32 v[6:7], v[34:35], v[40:41]
	v_pk_add_f32 v[16:17], v[16:17], v[48:49]
	v_pk_fma_f32 v[4:5], v[6:7], 0.5, v[4:5] op_sel_hi:[1,0,1] neg_lo:[1,0,0] neg_hi:[1,0,0]
	v_pk_add_f32 v[6:7], v[34:35], v[40:41] neg_lo:[0,1] neg_hi:[0,1]
	v_mov_b32_e32 v8, v10
	v_pk_mul_f32 v[6:7], v[6:7], s[0:1] op_sel_hi:[1,0]
	ds_write2_b64 v181, v[16:17], v[8:9] offset1:50
	v_pk_add_f32 v[8:9], v[4:5], v[6:7] op_sel:[0,1] op_sel_hi:[1,0] neg_lo:[0,1] neg_hi:[0,1]
	v_pk_add_f32 v[4:5], v[4:5], v[6:7] op_sel:[0,1] op_sel_hi:[1,0]
	v_pk_add_f32 v[12:13], v[12:13], v[40:41]
	v_mov_b32_e32 v6, v8
	v_mov_b32_e32 v7, v5
	v_add_u32_e32 v5, 0x800, v179
	ds_write2_b64 v5, v[12:13], v[6:7] offset0:44 offset1:94
	v_mov_b32_e32 v5, v9
	ds_write_b64 v179, v[4:5] offset:3200
	s_waitcnt lgkmcnt(0)
	s_barrier
	ds_read2_b64 v[4:7], v121 offset0:120 offset1:150
	ds_read2_b64 v[8:11], v121 offset1:30
	ds_read2_b64 v[12:15], v2 offset0:44 offset1:74
	v_mad_u64_u32 v[24:25], s[2:3], s6, v120, 0
	s_waitcnt lgkmcnt(2)
	v_pk_mul_f32 v[16:17], v[72:73], v[6:7]
	s_nop 0
	v_pk_fma_f32 v[26:27], v[92:93], v[6:7], v[16:17] op_sel:[0,0,1] op_sel_hi:[1,1,0]
	v_pk_fma_f32 v[6:7], v[92:93], v[6:7], v[16:17] op_sel:[0,0,1] op_sel_hi:[1,1,0] neg_lo:[0,0,1] neg_hi:[0,0,1]
	ds_read2_b64 v[16:19], v121 offset0:180 offset1:210
	v_mov_b32_e32 v27, v7
	s_waitcnt lgkmcnt(1)
	v_pk_mul_f32 v[6:7], v[74:75], v[12:13]
	s_nop 0
	v_pk_fma_f32 v[28:29], v[94:95], v[12:13], v[6:7] op_sel:[0,0,1] op_sel_hi:[1,1,0]
	v_pk_fma_f32 v[6:7], v[94:95], v[12:13], v[6:7] op_sel:[0,0,1] op_sel_hi:[1,1,0] neg_lo:[0,0,1] neg_hi:[0,0,1]
	s_waitcnt lgkmcnt(0)
	v_pk_mul_f32 v[12:13], v[68:69], v[16:17]
	v_mov_b32_e32 v29, v7
	v_pk_fma_f32 v[30:31], v[96:97], v[16:17], v[12:13] op_sel:[0,0,1] op_sel_hi:[1,1,0]
	v_pk_fma_f32 v[12:13], v[96:97], v[16:17], v[12:13] op_sel:[0,0,1] op_sel_hi:[1,1,0] neg_lo:[0,0,1] neg_hi:[0,0,1]
	v_pk_mul_f32 v[16:17], v[64:65], v[18:19]
	v_mov_b32_e32 v31, v13
	v_pk_mul_f32 v[12:13], v[70:71], v[14:15]
	v_pk_fma_f32 v[36:37], v[172:173], v[18:19], v[16:17] op_sel:[0,0,1] op_sel_hi:[1,1,0]
	v_pk_fma_f32 v[32:33], v[100:101], v[14:15], v[12:13] op_sel:[0,0,1] op_sel_hi:[1,1,0]
	v_pk_fma_f32 v[12:13], v[100:101], v[14:15], v[12:13] op_sel:[0,0,1] op_sel_hi:[1,1,0] neg_lo:[0,0,1] neg_hi:[0,0,1]
	v_pk_fma_f32 v[16:17], v[172:173], v[18:19], v[16:17] op_sel:[0,0,1] op_sel_hi:[1,1,0] neg_lo:[0,0,1] neg_hi:[0,0,1]
	v_mov_b32_e32 v33, v13
	v_pk_add_f32 v[12:13], v[10:11], v[30:31]
	v_mov_b32_e32 v37, v17
	v_pk_add_f32 v[34:35], v[12:13], v[32:33]
	ds_read2_b64 v[12:15], v121 offset0:60 offset1:90
	ds_read2_b64 v[20:23], v2 offset0:104 offset1:134
	;; [unrolled: 1-line block ×3, first 2 shown]
	v_pk_add_f32 v[6:7], v[8:9], v[26:27]
	v_add_u32_e32 v3, 0x800, v113
	v_pk_add_f32 v[6:7], v[6:7], v[28:29]
	s_waitcnt lgkmcnt(1)
	v_pk_mul_f32 v[38:39], v[66:67], v[20:21]
	s_waitcnt lgkmcnt(0)
	v_pk_mul_f32 v[44:45], v[56:57], v[18:19]
	v_pk_fma_f32 v[40:41], v[170:171], v[20:21], v[38:39] op_sel:[0,0,1] op_sel_hi:[1,1,0]
	v_pk_fma_f32 v[20:21], v[170:171], v[20:21], v[38:39] op_sel:[0,0,1] op_sel_hi:[1,1,0] neg_lo:[0,0,1] neg_hi:[0,0,1]
	v_pk_mul_f32 v[38:39], v[60:61], v[16:17]
	ds_write_b64 v121, v[6:7]
	v_pk_fma_f32 v[42:43], v[84:85], v[16:17], v[38:39] op_sel:[0,0,1] op_sel_hi:[1,1,0]
	v_pk_fma_f32 v[16:17], v[84:85], v[16:17], v[38:39] op_sel:[0,0,1] op_sel_hi:[1,1,0] neg_lo:[0,0,1] neg_hi:[0,0,1]
	v_pk_add_f32 v[6:7], v[26:27], v[28:29]
	v_mov_b32_e32 v43, v17
	v_pk_mul_f32 v[16:17], v[62:63], v[22:23]
	v_pk_fma_f32 v[46:47], v[88:89], v[18:19], v[44:45] op_sel:[0,0,1] op_sel_hi:[1,1,0]
	v_pk_fma_f32 v[38:39], v[86:87], v[22:23], v[16:17] op_sel:[0,0,1] op_sel_hi:[1,1,0]
	v_pk_fma_f32 v[16:17], v[86:87], v[22:23], v[16:17] op_sel:[0,0,1] op_sel_hi:[1,1,0] neg_lo:[0,0,1] neg_hi:[0,0,1]
	ds_read_b64 v[22:23], v121 offset:3360
	v_pk_fma_f32 v[18:19], v[88:89], v[18:19], v[44:45] op_sel:[0,0,1] op_sel_hi:[1,1,0] neg_lo:[0,0,1] neg_hi:[0,0,1]
	v_pk_fma_f32 v[6:7], v[6:7], 0.5, v[8:9] op_sel_hi:[1,0,1] neg_lo:[1,0,0] neg_hi:[1,0,0]
	v_pk_add_f32 v[8:9], v[26:27], v[28:29] neg_lo:[0,1] neg_hi:[0,1]
	v_mov_b32_e32 v47, v19
	s_waitcnt lgkmcnt(0)
	v_pk_mul_f32 v[18:19], v[58:59], v[22:23]
	v_pk_mul_f32 v[8:9], v[8:9], s[0:1] op_sel_hi:[1,0]
	v_pk_fma_f32 v[44:45], v[90:91], v[22:23], v[18:19] op_sel:[0,0,1] op_sel_hi:[1,1,0]
	v_pk_fma_f32 v[18:19], v[90:91], v[22:23], v[18:19] op_sel:[0,0,1] op_sel_hi:[1,1,0] neg_lo:[0,0,1] neg_hi:[0,0,1]
	v_pk_add_f32 v[22:23], v[6:7], v[8:9] op_sel:[0,1] op_sel_hi:[1,0] neg_lo:[0,1] neg_hi:[0,1]
	v_pk_add_f32 v[6:7], v[6:7], v[8:9] op_sel:[0,1] op_sel_hi:[1,0]
	v_mov_b32_e32 v8, v22
	v_mov_b32_e32 v9, v7
	;; [unrolled: 1-line block ×3, first 2 shown]
	v_pk_add_f32 v[22:23], v[30:31], v[32:33]
	v_mov_b32_e32 v41, v21
	v_pk_fma_f32 v[10:11], v[22:23], 0.5, v[10:11] op_sel_hi:[1,0,1] neg_lo:[1,0,0] neg_hi:[1,0,0]
	v_pk_add_f32 v[22:23], v[30:31], v[32:33] neg_lo:[0,1] neg_hi:[0,1]
	v_pk_add_f32 v[20:21], v[12:13], v[36:37]
	v_pk_mul_f32 v[22:23], v[22:23], s[0:1] op_sel_hi:[1,0]
	v_pk_add_f32 v[20:21], v[20:21], v[40:41]
	v_pk_add_f32 v[26:27], v[10:11], v[22:23] op_sel:[0,1] op_sel_hi:[1,0] neg_lo:[0,1] neg_hi:[0,1]
	v_pk_add_f32 v[10:11], v[10:11], v[22:23] op_sel:[0,1] op_sel_hi:[1,0]
	v_mov_b32_e32 v22, v26
	v_mov_b32_e32 v23, v11
	;; [unrolled: 1-line block ×3, first 2 shown]
	ds_write2_b64 v113, v[8:9], v[22:23] offset0:150 offset1:180
	ds_write2_b64 v3, v[6:7], v[10:11] offset0:44 offset1:74
	;; [unrolled: 1-line block ×3, first 2 shown]
	v_pk_add_f32 v[6:7], v[36:37], v[40:41]
	v_pk_add_f32 v[8:9], v[36:37], v[40:41] neg_lo:[0,1] neg_hi:[0,1]
	v_pk_fma_f32 v[6:7], v[6:7], 0.5, v[12:13] op_sel_hi:[1,0,1] neg_lo:[1,0,0] neg_hi:[1,0,0]
	v_pk_mul_f32 v[8:9], v[8:9], s[0:1] op_sel_hi:[1,0]
	v_mov_b32_e32 v39, v17
	v_pk_add_f32 v[10:11], v[6:7], v[8:9] op_sel:[0,1] op_sel_hi:[1,0] neg_lo:[0,1] neg_hi:[0,1]
	v_pk_add_f32 v[6:7], v[6:7], v[8:9] op_sel:[0,1] op_sel_hi:[1,0]
	v_pk_add_f32 v[16:17], v[14:15], v[42:43]
	v_mov_b32_e32 v8, v10
	v_mov_b32_e32 v9, v7
	;; [unrolled: 1-line block ×3, first 2 shown]
	v_pk_add_f32 v[16:17], v[16:17], v[38:39]
	ds_write_b64 v113, v[8:9] offset:1680
	ds_write_b64 v113, v[6:7] offset:2880
	;; [unrolled: 1-line block ×3, first 2 shown]
	v_pk_add_f32 v[6:7], v[42:43], v[38:39]
	v_pk_add_f32 v[8:9], v[42:43], v[38:39] neg_lo:[0,1] neg_hi:[0,1]
	v_pk_fma_f32 v[6:7], v[6:7], 0.5, v[14:15] op_sel_hi:[1,0,1] neg_lo:[1,0,0] neg_hi:[1,0,0]
	v_pk_mul_f32 v[8:9], v[8:9], s[0:1] op_sel_hi:[1,0]
	v_mov_b32_e32 v45, v19
	v_pk_add_f32 v[10:11], v[6:7], v[8:9] op_sel:[0,1] op_sel_hi:[1,0] neg_lo:[0,1] neg_hi:[0,1]
	v_pk_add_f32 v[6:7], v[6:7], v[8:9] op_sel:[0,1] op_sel_hi:[1,0]
	v_pk_add_f32 v[18:19], v[4:5], v[46:47]
	v_mov_b32_e32 v8, v10
	v_mov_b32_e32 v9, v7
	;; [unrolled: 1-line block ×3, first 2 shown]
	v_pk_add_f32 v[18:19], v[18:19], v[44:45]
	ds_write_b64 v113, v[8:9] offset:1920
	ds_write_b64 v113, v[6:7] offset:3120
	;; [unrolled: 1-line block ×3, first 2 shown]
	v_pk_add_f32 v[6:7], v[46:47], v[44:45]
	v_add_u32_e32 v3, 0x400, v183
	v_pk_fma_f32 v[4:5], v[6:7], 0.5, v[4:5] op_sel_hi:[1,0,1] neg_lo:[1,0,0] neg_hi:[1,0,0]
	v_pk_add_f32 v[6:7], v[46:47], v[44:45] neg_lo:[0,1] neg_hi:[0,1]
	s_nop 0
	v_pk_mul_f32 v[6:7], v[6:7], s[0:1] op_sel_hi:[1,0]
	s_nop 0
	v_pk_add_f32 v[8:9], v[4:5], v[6:7] op_sel:[0,1] op_sel_hi:[1,0] neg_lo:[0,1] neg_hi:[0,1]
	v_pk_add_f32 v[4:5], v[4:5], v[6:7] op_sel:[0,1] op_sel_hi:[1,0]
	v_mov_b32_e32 v6, v8
	v_mov_b32_e32 v7, v5
	;; [unrolled: 1-line block ×3, first 2 shown]
	ds_write2_b64 v3, v[6:7], v[4:5] offset0:22 offset1:172
	s_waitcnt lgkmcnt(0)
	s_barrier
	ds_read2_b64 v[4:7], v121 offset1:45
	v_mov_b32_e32 v8, v25
	v_mad_u64_u32 v[8:9], s[0:1], s7, v120, v[8:9]
	v_mov_b32_e32 v25, v8
	s_waitcnt lgkmcnt(0)
	v_mul_f32_e32 v3, v129, v5
	v_fmac_f32_e32 v3, v128, v4
	v_cvt_f64_f32_e32 v[8:9], v3
	v_mul_f32_e32 v3, v129, v4
	s_mov_b32 s0, 0x789abcdf
	v_fma_f32 v3, v128, v5, -v3
	s_mov_b32 s1, 0x3f623456
	v_cvt_f64_f32_e32 v[4:5], v3
	v_mul_f64 v[8:9], v[8:9], s[0:1]
	v_mul_f64 v[4:5], v[4:5], s[0:1]
	v_cvt_f32_f64_e32 v8, v[8:9]
	v_cvt_f32_f64_e32 v9, v[4:5]
	v_mad_u64_u32 v[4:5], s[2:3], s4, v112, 0
	v_mov_b32_e32 v10, v5
	v_mad_u64_u32 v[10:11], s[2:3], s5, v112, v[10:11]
	v_mul_f32_e32 v3, v127, v7
	v_mov_b32_e32 v5, v10
	v_lshl_add_u64 v[0:1], v[24:25], 3, v[0:1]
	v_fmac_f32_e32 v3, v126, v6
	v_lshl_add_u64 v[0:1], v[4:5], 3, v[0:1]
	v_cvt_f64_f32_e32 v[4:5], v3
	v_mul_f32_e32 v3, v127, v6
	v_mul_f64 v[4:5], v[4:5], s[0:1]
	v_fma_f32 v3, v126, v7, -v3
	global_store_dwordx2 v[0:1], v[8:9], off
	v_cvt_f32_f64_e32 v8, v[4:5]
	v_cvt_f64_f32_e32 v[4:5], v3
	v_mul_f64 v[4:5], v[4:5], s[0:1]
	v_cvt_f32_f64_e32 v9, v[4:5]
	ds_read2_b64 v[4:7], v121 offset0:90 offset1:135
	s_mul_i32 s2, s5, 45
	s_mul_hi_u32 s3, s4, 45
	s_add_i32 s3, s3, s2
	s_mul_i32 s2, s4, 45
	s_lshl_b64 s[2:3], s[2:3], 3
	s_waitcnt lgkmcnt(0)
	v_mul_f32_e32 v3, v125, v5
	v_lshl_add_u64 v[0:1], v[0:1], 0, s[2:3]
	v_fmac_f32_e32 v3, v124, v4
	global_store_dwordx2 v[0:1], v[8:9], off
	v_cvt_f64_f32_e32 v[8:9], v3
	v_mul_f32_e32 v3, v125, v4
	v_fma_f32 v3, v124, v5, -v3
	v_cvt_f64_f32_e32 v[4:5], v3
	v_mul_f32_e32 v3, v123, v7
	v_mul_f64 v[8:9], v[8:9], s[0:1]
	v_mul_f64 v[4:5], v[4:5], s[0:1]
	v_fmac_f32_e32 v3, v122, v6
	v_cvt_f32_f64_e32 v8, v[8:9]
	v_cvt_f32_f64_e32 v9, v[4:5]
	v_cvt_f64_f32_e32 v[4:5], v3
	v_lshl_add_u64 v[0:1], v[0:1], 0, s[2:3]
	v_mul_f64 v[4:5], v[4:5], s[0:1]
	v_mul_f32_e32 v3, v123, v6
	global_store_dwordx2 v[0:1], v[8:9], off
	v_cvt_f32_f64_e32 v8, v[4:5]
	v_fma_f32 v3, v122, v7, -v3
	ds_read2_b64 v[4:7], v121 offset0:180 offset1:225
	v_cvt_f64_f32_e32 v[10:11], v3
	v_mul_f64 v[10:11], v[10:11], s[0:1]
	v_cvt_f32_f64_e32 v9, v[10:11]
	v_lshl_add_u64 v[0:1], v[0:1], 0, s[2:3]
	s_waitcnt lgkmcnt(0)
	v_mul_f32_e32 v3, v119, v5
	v_fmac_f32_e32 v3, v118, v4
	global_store_dwordx2 v[0:1], v[8:9], off
	v_cvt_f64_f32_e32 v[8:9], v3
	v_mul_f32_e32 v3, v119, v4
	v_fma_f32 v3, v118, v5, -v3
	v_cvt_f64_f32_e32 v[4:5], v3
	v_mul_f32_e32 v3, v117, v7
	v_mul_f64 v[8:9], v[8:9], s[0:1]
	v_mul_f64 v[4:5], v[4:5], s[0:1]
	v_fmac_f32_e32 v3, v116, v6
	v_cvt_f32_f64_e32 v8, v[8:9]
	v_cvt_f32_f64_e32 v9, v[4:5]
	v_cvt_f64_f32_e32 v[4:5], v3
	v_lshl_add_u64 v[0:1], v[0:1], 0, s[2:3]
	v_mul_f64 v[4:5], v[4:5], s[0:1]
	v_mul_f32_e32 v3, v117, v6
	global_store_dwordx2 v[0:1], v[8:9], off
	v_cvt_f32_f64_e32 v8, v[4:5]
	v_fma_f32 v3, v116, v7, -v3
	ds_read2_b64 v[4:7], v2 offset0:14 offset1:59
	v_cvt_f64_f32_e32 v[10:11], v3
	v_mul_f64 v[10:11], v[10:11], s[0:1]
	v_cvt_f32_f64_e32 v9, v[10:11]
	v_lshl_add_u64 v[0:1], v[0:1], 0, s[2:3]
	s_waitcnt lgkmcnt(0)
	v_mul_f32_e32 v3, v115, v5
	;; [unrolled: 26-line block ×3, first 2 shown]
	v_fmac_f32_e32 v3, v108, v4
	global_store_dwordx2 v[0:1], v[8:9], off
	v_cvt_f64_f32_e32 v[8:9], v3
	v_mul_f32_e32 v3, v109, v4
	v_fma_f32 v3, v108, v5, -v3
	v_cvt_f64_f32_e32 v[4:5], v3
	v_mul_f32_e32 v3, v107, v7
	v_mul_f64 v[8:9], v[8:9], s[0:1]
	v_mul_f64 v[4:5], v[4:5], s[0:1]
	v_fmac_f32_e32 v3, v106, v6
	v_cvt_f32_f64_e32 v8, v[8:9]
	v_cvt_f32_f64_e32 v9, v[4:5]
	v_cvt_f64_f32_e32 v[4:5], v3
	v_mul_f32_e32 v3, v107, v6
	v_fma_f32 v3, v106, v7, -v3
	v_cvt_f64_f32_e32 v[6:7], v3
	v_lshl_add_u64 v[0:1], v[0:1], 0, s[2:3]
	v_mul_f64 v[4:5], v[4:5], s[0:1]
	v_mul_f64 v[6:7], v[6:7], s[0:1]
	global_store_dwordx2 v[0:1], v[8:9], off
	v_cvt_f32_f64_e32 v4, v[4:5]
	v_cvt_f32_f64_e32 v5, v[6:7]
	v_lshl_add_u64 v[0:1], v[0:1], 0, s[2:3]
	global_store_dwordx2 v[0:1], v[4:5], off
	s_and_b64 exec, exec, vcc
	s_cbranch_execz .LBB0_15
; %bb.14:
	global_load_dwordx2 v[8:9], v[104:105], off offset:240
	ds_read2_b64 v[4:7], v113 offset0:30 offset1:120
	v_mov_b32_e32 v3, 0xfffff448
	v_mad_u64_u32 v[0:1], s[6:7], s4, v3, v[0:1]
	s_mulk_i32 s5, 0xf448
	s_sub_i32 s4, s5, s4
	v_add_u32_e32 v1, s4, v1
	s_waitcnt vmcnt(0) lgkmcnt(0)
	v_mul_f32_e32 v3, v5, v9
	v_mul_f32_e32 v9, v4, v9
	v_fmac_f32_e32 v3, v4, v8
	v_fma_f32 v8, v8, v5, -v9
	v_cvt_f64_f32_e32 v[4:5], v3
	v_cvt_f64_f32_e32 v[8:9], v8
	v_mul_f64 v[4:5], v[4:5], s[0:1]
	v_mul_f64 v[8:9], v[8:9], s[0:1]
	v_cvt_f32_f64_e32 v4, v[4:5]
	v_cvt_f32_f64_e32 v5, v[8:9]
	global_store_dwordx2 v[0:1], v[4:5], off
	global_load_dwordx2 v[4:5], v[104:105], off offset:600
	ds_read2_b64 v[8:11], v121 offset0:75 offset1:165
	v_lshl_add_u64 v[0:1], v[0:1], 0, s[2:3]
	s_waitcnt vmcnt(0) lgkmcnt(0)
	v_mul_f32_e32 v3, v9, v5
	v_mul_f32_e32 v5, v8, v5
	v_fmac_f32_e32 v3, v8, v4
	v_fma_f32 v8, v4, v9, -v5
	v_cvt_f64_f32_e32 v[4:5], v3
	v_cvt_f64_f32_e32 v[8:9], v8
	v_mul_f64 v[4:5], v[4:5], s[0:1]
	v_mul_f64 v[8:9], v[8:9], s[0:1]
	v_cvt_f32_f64_e32 v4, v[4:5]
	v_cvt_f32_f64_e32 v5, v[8:9]
	global_store_dwordx2 v[0:1], v[4:5], off
	global_load_dwordx2 v[4:5], v[104:105], off offset:960
	v_lshl_add_u64 v[0:1], v[0:1], 0, s[2:3]
	s_waitcnt vmcnt(0)
	v_mul_f32_e32 v3, v7, v5
	v_mul_f32_e32 v5, v6, v5
	v_fmac_f32_e32 v3, v6, v4
	v_fma_f32 v6, v4, v7, -v5
	v_cvt_f64_f32_e32 v[4:5], v3
	v_cvt_f64_f32_e32 v[6:7], v6
	v_mul_f64 v[4:5], v[4:5], s[0:1]
	v_mul_f64 v[6:7], v[6:7], s[0:1]
	v_cvt_f32_f64_e32 v4, v[4:5]
	v_cvt_f32_f64_e32 v5, v[6:7]
	global_store_dwordx2 v[0:1], v[4:5], off
	global_load_dwordx2 v[4:5], v[104:105], off offset:1320
	v_lshl_add_u64 v[0:1], v[0:1], 0, s[2:3]
	s_waitcnt vmcnt(0)
	v_mul_f32_e32 v3, v11, v5
	v_mul_f32_e32 v5, v10, v5
	v_fmac_f32_e32 v3, v10, v4
	v_fma_f32 v6, v4, v11, -v5
	v_cvt_f64_f32_e32 v[4:5], v3
	v_cvt_f64_f32_e32 v[6:7], v6
	v_mul_f64 v[4:5], v[4:5], s[0:1]
	v_mul_f64 v[6:7], v[6:7], s[0:1]
	v_cvt_f32_f64_e32 v4, v[4:5]
	v_cvt_f32_f64_e32 v5, v[6:7]
	global_store_dwordx2 v[0:1], v[4:5], off
	global_load_dwordx2 v[8:9], v[104:105], off offset:1680
	ds_read2_b64 v[4:7], v121 offset0:210 offset1:255
	v_lshl_add_u64 v[0:1], v[0:1], 0, s[2:3]
	s_waitcnt vmcnt(0) lgkmcnt(0)
	v_mul_f32_e32 v3, v5, v9
	v_mul_f32_e32 v9, v4, v9
	v_fmac_f32_e32 v3, v4, v8
	v_fma_f32 v8, v8, v5, -v9
	v_cvt_f64_f32_e32 v[4:5], v3
	v_cvt_f64_f32_e32 v[8:9], v8
	v_mul_f64 v[4:5], v[4:5], s[0:1]
	v_mul_f64 v[8:9], v[8:9], s[0:1]
	v_cvt_f32_f64_e32 v4, v[4:5]
	v_cvt_f32_f64_e32 v5, v[8:9]
	global_store_dwordx2 v[0:1], v[4:5], off
	global_load_dwordx2 v[4:5], v[104:105], off offset:2040
	v_lshl_add_u64 v[0:1], v[0:1], 0, s[2:3]
	s_waitcnt vmcnt(0)
	v_mul_f32_e32 v3, v7, v5
	v_mul_f32_e32 v5, v6, v5
	v_fmac_f32_e32 v3, v6, v4
	v_fma_f32 v6, v4, v7, -v5
	v_cvt_f64_f32_e32 v[4:5], v3
	v_cvt_f64_f32_e32 v[6:7], v6
	v_mul_f64 v[4:5], v[4:5], s[0:1]
	v_mul_f64 v[6:7], v[6:7], s[0:1]
	v_cvt_f32_f64_e32 v4, v[4:5]
	v_cvt_f32_f64_e32 v5, v[6:7]
	global_store_dwordx2 v[0:1], v[4:5], off
	global_load_dwordx2 v[8:9], v[104:105], off offset:2400
	ds_read2_b64 v[4:7], v2 offset0:44 offset1:89
	v_lshl_add_u64 v[0:1], v[0:1], 0, s[2:3]
	s_waitcnt vmcnt(0) lgkmcnt(0)
	;; [unrolled: 29-line block ×3, first 2 shown]
	v_mul_f32_e32 v8, v1, v5
	v_mul_f32_e32 v5, v0, v5
	v_fmac_f32_e32 v8, v0, v4
	v_fma_f32 v4, v4, v1, -v5
	v_cvt_f64_f32_e32 v[0:1], v8
	v_cvt_f64_f32_e32 v[4:5], v4
	v_mul_f64 v[0:1], v[0:1], s[0:1]
	v_mul_f64 v[4:5], v[4:5], s[0:1]
	v_cvt_f32_f64_e32 v0, v[0:1]
	v_cvt_f32_f64_e32 v1, v[4:5]
	global_store_dwordx2 v[6:7], v[0:1], off
	global_load_dwordx2 v[0:1], v[104:105], off offset:3480
	s_waitcnt vmcnt(0)
	v_mul_f32_e32 v4, v3, v1
	v_mul_f32_e32 v1, v2, v1
	v_fmac_f32_e32 v4, v2, v0
	v_fma_f32 v2, v0, v3, -v1
	v_cvt_f64_f32_e32 v[0:1], v4
	v_cvt_f64_f32_e32 v[2:3], v2
	v_mul_f64 v[0:1], v[0:1], s[0:1]
	v_mul_f64 v[2:3], v[2:3], s[0:1]
	v_cvt_f32_f64_e32 v0, v[0:1]
	v_cvt_f32_f64_e32 v1, v[2:3]
	v_lshl_add_u64 v[2:3], v[6:7], 0, s[2:3]
	global_store_dwordx2 v[2:3], v[0:1], off
.LBB0_15:
	s_endpgm
	.section	.rodata,"a",@progbits
	.p2align	6, 0x0
	.amdhsa_kernel bluestein_single_fwd_len450_dim1_sp_op_CI_CI
		.amdhsa_group_segment_fixed_size 14400
		.amdhsa_private_segment_fixed_size 0
		.amdhsa_kernarg_size 104
		.amdhsa_user_sgpr_count 2
		.amdhsa_user_sgpr_dispatch_ptr 0
		.amdhsa_user_sgpr_queue_ptr 0
		.amdhsa_user_sgpr_kernarg_segment_ptr 1
		.amdhsa_user_sgpr_dispatch_id 0
		.amdhsa_user_sgpr_kernarg_preload_length 0
		.amdhsa_user_sgpr_kernarg_preload_offset 0
		.amdhsa_user_sgpr_private_segment_size 0
		.amdhsa_uses_dynamic_stack 0
		.amdhsa_enable_private_segment 0
		.amdhsa_system_sgpr_workgroup_id_x 1
		.amdhsa_system_sgpr_workgroup_id_y 0
		.amdhsa_system_sgpr_workgroup_id_z 0
		.amdhsa_system_sgpr_workgroup_info 0
		.amdhsa_system_vgpr_workitem_id 0
		.amdhsa_next_free_vgpr 219
		.amdhsa_next_free_sgpr 26
		.amdhsa_accum_offset 220
		.amdhsa_reserve_vcc 1
		.amdhsa_float_round_mode_32 0
		.amdhsa_float_round_mode_16_64 0
		.amdhsa_float_denorm_mode_32 3
		.amdhsa_float_denorm_mode_16_64 3
		.amdhsa_dx10_clamp 1
		.amdhsa_ieee_mode 1
		.amdhsa_fp16_overflow 0
		.amdhsa_tg_split 0
		.amdhsa_exception_fp_ieee_invalid_op 0
		.amdhsa_exception_fp_denorm_src 0
		.amdhsa_exception_fp_ieee_div_zero 0
		.amdhsa_exception_fp_ieee_overflow 0
		.amdhsa_exception_fp_ieee_underflow 0
		.amdhsa_exception_fp_ieee_inexact 0
		.amdhsa_exception_int_div_zero 0
	.end_amdhsa_kernel
	.text
.Lfunc_end0:
	.size	bluestein_single_fwd_len450_dim1_sp_op_CI_CI, .Lfunc_end0-bluestein_single_fwd_len450_dim1_sp_op_CI_CI
                                        ; -- End function
	.section	.AMDGPU.csdata,"",@progbits
; Kernel info:
; codeLenInByte = 14856
; NumSgprs: 32
; NumVgprs: 219
; NumAgprs: 0
; TotalNumVgprs: 219
; ScratchSize: 0
; MemoryBound: 0
; FloatMode: 240
; IeeeMode: 1
; LDSByteSize: 14400 bytes/workgroup (compile time only)
; SGPRBlocks: 3
; VGPRBlocks: 27
; NumSGPRsForWavesPerEU: 32
; NumVGPRsForWavesPerEU: 219
; AccumOffset: 220
; Occupancy: 2
; WaveLimiterHint : 1
; COMPUTE_PGM_RSRC2:SCRATCH_EN: 0
; COMPUTE_PGM_RSRC2:USER_SGPR: 2
; COMPUTE_PGM_RSRC2:TRAP_HANDLER: 0
; COMPUTE_PGM_RSRC2:TGID_X_EN: 1
; COMPUTE_PGM_RSRC2:TGID_Y_EN: 0
; COMPUTE_PGM_RSRC2:TGID_Z_EN: 0
; COMPUTE_PGM_RSRC2:TIDIG_COMP_CNT: 0
; COMPUTE_PGM_RSRC3_GFX90A:ACCUM_OFFSET: 54
; COMPUTE_PGM_RSRC3_GFX90A:TG_SPLIT: 0
	.text
	.p2alignl 6, 3212836864
	.fill 256, 4, 3212836864
	.type	__hip_cuid_c3f8d2dfca3d39ee,@object ; @__hip_cuid_c3f8d2dfca3d39ee
	.section	.bss,"aw",@nobits
	.globl	__hip_cuid_c3f8d2dfca3d39ee
__hip_cuid_c3f8d2dfca3d39ee:
	.byte	0                               ; 0x0
	.size	__hip_cuid_c3f8d2dfca3d39ee, 1

	.ident	"AMD clang version 19.0.0git (https://github.com/RadeonOpenCompute/llvm-project roc-6.4.0 25133 c7fe45cf4b819c5991fe208aaa96edf142730f1d)"
	.section	".note.GNU-stack","",@progbits
	.addrsig
	.addrsig_sym __hip_cuid_c3f8d2dfca3d39ee
	.amdgpu_metadata
---
amdhsa.kernels:
  - .agpr_count:     0
    .args:
      - .actual_access:  read_only
        .address_space:  global
        .offset:         0
        .size:           8
        .value_kind:     global_buffer
      - .actual_access:  read_only
        .address_space:  global
        .offset:         8
        .size:           8
        .value_kind:     global_buffer
      - .actual_access:  read_only
        .address_space:  global
        .offset:         16
        .size:           8
        .value_kind:     global_buffer
      - .actual_access:  read_only
        .address_space:  global
        .offset:         24
        .size:           8
        .value_kind:     global_buffer
      - .actual_access:  read_only
        .address_space:  global
        .offset:         32
        .size:           8
        .value_kind:     global_buffer
      - .offset:         40
        .size:           8
        .value_kind:     by_value
      - .address_space:  global
        .offset:         48
        .size:           8
        .value_kind:     global_buffer
      - .address_space:  global
        .offset:         56
        .size:           8
        .value_kind:     global_buffer
      - .address_space:  global
        .offset:         64
        .size:           8
        .value_kind:     global_buffer
      - .address_space:  global
        .offset:         72
        .size:           8
        .value_kind:     global_buffer
      - .offset:         80
        .size:           4
        .value_kind:     by_value
      - .address_space:  global
        .offset:         88
        .size:           8
        .value_kind:     global_buffer
      - .address_space:  global
        .offset:         96
        .size:           8
        .value_kind:     global_buffer
    .group_segment_fixed_size: 14400
    .kernarg_segment_align: 8
    .kernarg_segment_size: 104
    .language:       OpenCL C
    .language_version:
      - 2
      - 0
    .max_flat_workgroup_size: 120
    .name:           bluestein_single_fwd_len450_dim1_sp_op_CI_CI
    .private_segment_fixed_size: 0
    .sgpr_count:     32
    .sgpr_spill_count: 0
    .symbol:         bluestein_single_fwd_len450_dim1_sp_op_CI_CI.kd
    .uniform_work_group_size: 1
    .uses_dynamic_stack: false
    .vgpr_count:     219
    .vgpr_spill_count: 0
    .wavefront_size: 64
amdhsa.target:   amdgcn-amd-amdhsa--gfx950
amdhsa.version:
  - 1
  - 2
...

	.end_amdgpu_metadata
